;; amdgpu-corpus repo=ROCm/rocFFT kind=compiled arch=gfx906 opt=O3
	.text
	.amdgcn_target "amdgcn-amd-amdhsa--gfx906"
	.amdhsa_code_object_version 6
	.protected	bluestein_single_back_len102_dim1_half_op_CI_CI ; -- Begin function bluestein_single_back_len102_dim1_half_op_CI_CI
	.globl	bluestein_single_back_len102_dim1_half_op_CI_CI
	.p2align	8
	.type	bluestein_single_back_len102_dim1_half_op_CI_CI,@function
bluestein_single_back_len102_dim1_half_op_CI_CI: ; @bluestein_single_back_len102_dim1_half_op_CI_CI
; %bb.0:
	v_mul_u32_u24_e32 v1, 0xf10, v0
	s_load_dwordx4 s[0:3], s[4:5], 0x28
	v_lshrrev_b32_e32 v1, 16, v1
	v_mad_u64_u32 v[4:5], s[6:7], s6, 7, v[1:2]
	v_mov_b32_e32 v5, 0
	s_waitcnt lgkmcnt(0)
	v_cmp_gt_u64_e32 vcc, s[0:1], v[4:5]
	s_and_saveexec_b64 s[0:1], vcc
	s_cbranch_execz .LBB0_15
; %bb.1:
	s_mov_b32 s0, 0x24924925
	v_mul_hi_u32 v2, v4, s0
	s_load_dwordx2 s[6:7], s[4:5], 0x0
	s_load_dwordx2 s[12:13], s[4:5], 0x38
	v_mul_lo_u16_e32 v1, 17, v1
	v_sub_u16_e32 v25, v0, v1
	v_sub_u32_e32 v3, v4, v2
	v_lshrrev_b32_e32 v3, 1, v3
	v_add_u32_e32 v2, v3, v2
	v_lshrrev_b32_e32 v2, 2, v2
	v_mul_lo_u32 v2, v2, 7
	v_cmp_gt_u16_e32 vcc, 6, v25
	v_lshlrev_b32_e32 v26, 2, v25
	v_or_b32_e32 v28, 24, v25
	v_sub_u32_e32 v0, v4, v2
	v_mul_u32_u24_e32 v30, 0x66, v0
	v_lshlrev_b32_e32 v29, 2, v30
	v_or_b32_e32 v27, 48, v25
	s_and_saveexec_b64 s[14:15], vcc
	s_cbranch_execz .LBB0_3
; %bb.2:
	s_load_dwordx2 s[0:1], s[4:5], 0x18
	v_lshl_add_u32 v24, v25, 2, v29
	s_waitcnt lgkmcnt(0)
	s_load_dwordx4 s[8:11], s[0:1], 0x0
	s_waitcnt lgkmcnt(0)
	v_mad_u64_u32 v[0:1], s[0:1], s10, v4, 0
	v_mad_u64_u32 v[2:3], s[0:1], s8, v25, 0
	s_mul_hi_u32 s16, s8, 48
	s_mul_i32 s10, s8, 48
	v_mad_u64_u32 v[5:6], s[0:1], s11, v4, v[1:2]
	v_mad_u64_u32 v[6:7], s[0:1], s9, v25, v[3:4]
	v_mov_b32_e32 v1, v5
	v_lshlrev_b64 v[0:1], 2, v[0:1]
	v_mov_b32_e32 v3, v6
	v_mov_b32_e32 v7, s3
	v_lshlrev_b64 v[2:3], 2, v[2:3]
	v_add_co_u32_e64 v10, s[0:1], s2, v0
	v_addc_co_u32_e64 v11, s[0:1], v7, v1, s[0:1]
	v_add_co_u32_e64 v0, s[0:1], v10, v2
	v_addc_co_u32_e64 v1, s[0:1], v11, v3, s[0:1]
	s_mul_i32 s0, s9, 24
	s_mul_hi_u32 s3, s8, 24
	global_load_dword v12, v[0:1], off
	global_load_dword v13, v26, s[6:7]
	global_load_dword v14, v26, s[6:7] offset:24
	s_mul_i32 s2, s8, 24
	s_add_i32 s3, s3, s0
	v_mov_b32_e32 v2, s3
	v_add_co_u32_e64 v0, s[0:1], s2, v0
	v_addc_co_u32_e64 v1, s[0:1], v1, v2, s[0:1]
	global_load_dword v15, v[0:1], off
	v_add_co_u32_e64 v0, s[0:1], s2, v0
	v_addc_co_u32_e64 v1, s[0:1], v1, v2, s[0:1]
	global_load_dword v16, v[0:1], off
	global_load_dword v17, v26, s[6:7] offset:48
	v_add_co_u32_e64 v0, s[0:1], s2, v0
	v_addc_co_u32_e64 v1, s[0:1], v1, v2, s[0:1]
	v_mad_u64_u32 v[2:3], s[0:1], s8, v28, 0
	v_mad_u64_u32 v[5:6], s[0:1], s8, v27, 0
	;; [unrolled: 1-line block ×3, first 2 shown]
	global_load_dword v18, v[0:1], off
	global_load_dword v19, v26, s[6:7] offset:72
	global_load_dword v20, v26, s[6:7] offset:96
	;; [unrolled: 1-line block ×5, first 2 shown]
	s_mul_i32 s11, s9, 48
	v_mad_u64_u32 v[8:9], s[0:1], s9, v27, v[6:7]
	v_mov_b32_e32 v3, v7
	v_lshlrev_b64 v[2:3], 2, v[2:3]
	v_mov_b32_e32 v6, v8
	v_lshlrev_b64 v[5:6], 2, v[5:6]
	v_add_co_u32_e64 v2, s[0:1], v10, v2
	v_addc_co_u32_e64 v3, s[0:1], v11, v3, s[0:1]
	v_add_co_u32_e64 v5, s[0:1], v10, v5
	s_add_i32 s11, s16, s11
	v_addc_co_u32_e64 v6, s[0:1], v11, v6, s[0:1]
	v_mov_b32_e32 v31, s11
	v_add_co_u32_e64 v0, s[0:1], s10, v0
	v_addc_co_u32_e64 v1, s[0:1], v1, v31, s[0:1]
	v_mov_b32_e32 v9, s3
	v_add_co_u32_e64 v7, s[0:1], s2, v0
	v_addc_co_u32_e64 v8, s[0:1], v1, v9, s[0:1]
	v_mov_b32_e32 v32, s3
	global_load_dword v9, v[2:3], off
	global_load_dword v31, v[0:1], off
	v_add_co_u32_e64 v0, s[0:1], s2, v7
	v_addc_co_u32_e64 v1, s[0:1], v8, v32, s[0:1]
	global_load_dword v32, v[7:8], off
	global_load_dword v33, v[0:1], off
	v_mov_b32_e32 v34, s11
	global_load_dword v7, v[5:6], off
	v_mov_b32_e32 v36, s3
	v_mov_b32_e32 v37, s3
	s_waitcnt vmcnt(16)
	v_lshrrev_b32_e32 v2, 16, v12
	s_waitcnt vmcnt(15)
	v_mul_f16_sdwa v3, v13, v12 dst_sel:DWORD dst_unused:UNUSED_PAD src0_sel:WORD_1 src1_sel:DWORD
	v_fma_f16 v3, v13, v2, -v3
	v_mul_f16_sdwa v2, v13, v2 dst_sel:DWORD dst_unused:UNUSED_PAD src0_sel:WORD_1 src1_sel:DWORD
	v_fma_f16 v2, v13, v12, v2
	v_pack_b32_f16 v2, v2, v3
	ds_write_b32 v24, v2
	s_waitcnt vmcnt(13)
	v_lshrrev_b32_e32 v2, 16, v15
	v_mul_f16_sdwa v5, v14, v15 dst_sel:DWORD dst_unused:UNUSED_PAD src0_sel:WORD_1 src1_sel:DWORD
	v_mul_f16_sdwa v3, v14, v2 dst_sel:DWORD dst_unused:UNUSED_PAD src0_sel:WORD_1 src1_sel:DWORD
	v_fma_f16 v2, v14, v2, -v5
	s_waitcnt vmcnt(12)
	v_lshrrev_b32_e32 v5, 16, v16
	s_waitcnt vmcnt(11)
	v_mul_f16_sdwa v6, v17, v5 dst_sel:DWORD dst_unused:UNUSED_PAD src0_sel:WORD_1 src1_sel:DWORD
	v_mul_f16_sdwa v8, v17, v16 dst_sel:DWORD dst_unused:UNUSED_PAD src0_sel:WORD_1 src1_sel:DWORD
	v_fma_f16 v3, v14, v15, v3
	v_fma_f16 v6, v17, v16, v6
	v_fma_f16 v5, v17, v5, -v8
	v_add_u32_e32 v8, v29, v26
	v_pack_b32_f16 v2, v3, v2
	v_pack_b32_f16 v3, v6, v5
	ds_write2_b32 v8, v2, v3 offset0:6 offset1:12
	s_waitcnt vmcnt(10)
	v_lshrrev_b32_e32 v2, 16, v18
	s_waitcnt vmcnt(9)
	v_mul_f16_sdwa v3, v19, v2 dst_sel:DWORD dst_unused:UNUSED_PAD src0_sel:WORD_1 src1_sel:DWORD
	v_mul_f16_sdwa v5, v19, v18 dst_sel:DWORD dst_unused:UNUSED_PAD src0_sel:WORD_1 src1_sel:DWORD
	v_fma_f16 v3, v19, v18, v3
	v_fma_f16 v2, v19, v2, -v5
	v_or_b32_e32 v5, 0x48, v25
	v_pack_b32_f16 v12, v3, v2
	v_mad_u64_u32 v[2:3], s[0:1], s8, v5, 0
	global_load_dword v13, v26, s[6:7] offset:192
	global_load_dword v14, v26, s[6:7] offset:216
	;; [unrolled: 1-line block ×8, first 2 shown]
	v_mad_u64_u32 v[5:6], s[0:1], s9, v5, v[3:4]
	v_add_co_u32_e64 v0, s[0:1], s10, v0
	v_addc_co_u32_e64 v1, s[0:1], v1, v34, s[0:1]
	v_or_b32_e32 v34, 0x60, v25
	v_mov_b32_e32 v3, v5
	v_mad_u64_u32 v[5:6], s[0:1], s8, v34, 0
	global_load_dword v35, v[0:1], off
	v_add_co_u32_e64 v0, s[0:1], s2, v0
	v_addc_co_u32_e64 v1, s[0:1], v1, v36, s[0:1]
	global_load_dword v36, v[0:1], off
	v_add_co_u32_e64 v0, s[0:1], s2, v0
	v_lshlrev_b64 v[2:3], 2, v[2:3]
	v_addc_co_u32_e64 v1, s[0:1], v1, v37, s[0:1]
	global_load_dword v37, v[0:1], off
	v_add_co_u32_e64 v2, s[0:1], v10, v2
	v_addc_co_u32_e64 v3, s[0:1], v11, v3, s[0:1]
	global_load_dword v38, v[2:3], off
	s_waitcnt vmcnt(12)
	v_mad_u64_u32 v[2:3], s[0:1], s9, v34, v[6:7]
	v_mov_b32_e32 v3, s11
	v_add_co_u32_e64 v0, s[0:1], s10, v0
	v_addc_co_u32_e64 v1, s[0:1], v1, v3, s[0:1]
	global_load_dword v3, v[0:1], off
	v_mov_b32_e32 v6, s3
	v_add_co_u32_e64 v0, s[0:1], s2, v0
	v_addc_co_u32_e64 v1, s[0:1], v1, v6, s[0:1]
	global_load_dword v34, v[0:1], off
	v_mov_b32_e32 v6, v2
	v_mov_b32_e32 v2, s3
	v_add_co_u32_e64 v0, s[0:1], s2, v0
	v_addc_co_u32_e64 v1, s[0:1], v1, v2, s[0:1]
	global_load_dword v2, v[0:1], off
	v_lshlrev_b64 v[0:1], 2, v[5:6]
	v_add_co_u32_e64 v0, s[0:1], v10, v0
	v_addc_co_u32_e64 v1, s[0:1], v11, v1, s[0:1]
	global_load_dword v5, v[0:1], off
	global_load_dword v6, v26, s[6:7] offset:384
	v_lshrrev_b32_e32 v0, 16, v9
	v_mul_f16_sdwa v1, v20, v0 dst_sel:DWORD dst_unused:UNUSED_PAD src0_sel:WORD_1 src1_sel:DWORD
	v_fma_f16 v1, v20, v9, v1
	v_mul_f16_sdwa v9, v20, v9 dst_sel:DWORD dst_unused:UNUSED_PAD src0_sel:WORD_1 src1_sel:DWORD
	v_fma_f16 v0, v20, v0, -v9
	v_pack_b32_f16 v0, v1, v0
	ds_write2_b32 v8, v12, v0 offset0:18 offset1:24
	v_lshrrev_b32_e32 v0, 16, v31
	v_mul_f16_sdwa v1, v21, v0 dst_sel:DWORD dst_unused:UNUSED_PAD src0_sel:WORD_1 src1_sel:DWORD
	v_mul_f16_sdwa v9, v21, v31 dst_sel:DWORD dst_unused:UNUSED_PAD src0_sel:WORD_1 src1_sel:DWORD
	v_fma_f16 v1, v21, v31, v1
	v_fma_f16 v0, v21, v0, -v9
	v_pack_b32_f16 v0, v1, v0
	v_lshrrev_b32_e32 v1, 16, v32
	v_mul_f16_sdwa v9, v22, v1 dst_sel:DWORD dst_unused:UNUSED_PAD src0_sel:WORD_1 src1_sel:DWORD
	v_mul_f16_sdwa v10, v22, v32 dst_sel:DWORD dst_unused:UNUSED_PAD src0_sel:WORD_1 src1_sel:DWORD
	v_fma_f16 v9, v22, v32, v9
	v_fma_f16 v1, v22, v1, -v10
	v_pack_b32_f16 v1, v9, v1
	ds_write2_b32 v8, v0, v1 offset0:30 offset1:36
	v_lshrrev_b32_e32 v0, 16, v33
	v_mul_f16_sdwa v9, v23, v33 dst_sel:DWORD dst_unused:UNUSED_PAD src0_sel:WORD_1 src1_sel:DWORD
	v_mul_f16_sdwa v1, v23, v0 dst_sel:DWORD dst_unused:UNUSED_PAD src0_sel:WORD_1 src1_sel:DWORD
	v_fma_f16 v0, v23, v0, -v9
	v_lshrrev_b32_e32 v9, 16, v7
	s_waitcnt vmcnt(16)
	v_mul_f16_sdwa v10, v13, v9 dst_sel:DWORD dst_unused:UNUSED_PAD src0_sel:WORD_1 src1_sel:DWORD
	v_fma_f16 v10, v13, v7, v10
	v_mul_f16_sdwa v7, v13, v7 dst_sel:DWORD dst_unused:UNUSED_PAD src0_sel:WORD_1 src1_sel:DWORD
	v_fma_f16 v1, v23, v33, v1
	v_fma_f16 v7, v13, v9, -v7
	v_pack_b32_f16 v0, v1, v0
	v_pack_b32_f16 v1, v10, v7
	ds_write2_b32 v8, v0, v1 offset0:42 offset1:48
	s_waitcnt vmcnt(8)
	v_lshrrev_b32_e32 v0, 16, v35
	v_mul_f16_sdwa v1, v14, v0 dst_sel:DWORD dst_unused:UNUSED_PAD src0_sel:WORD_1 src1_sel:DWORD
	v_mul_f16_sdwa v7, v14, v35 dst_sel:DWORD dst_unused:UNUSED_PAD src0_sel:WORD_1 src1_sel:DWORD
	v_fma_f16 v1, v14, v35, v1
	v_fma_f16 v0, v14, v0, -v7
	v_pack_b32_f16 v0, v1, v0
	s_waitcnt vmcnt(7)
	v_lshrrev_b32_e32 v1, 16, v36
	v_mul_f16_sdwa v7, v15, v1 dst_sel:DWORD dst_unused:UNUSED_PAD src0_sel:WORD_1 src1_sel:DWORD
	v_mul_f16_sdwa v9, v15, v36 dst_sel:DWORD dst_unused:UNUSED_PAD src0_sel:WORD_1 src1_sel:DWORD
	v_fma_f16 v7, v15, v36, v7
	v_fma_f16 v1, v15, v1, -v9
	v_pack_b32_f16 v1, v7, v1
	ds_write2_b32 v8, v0, v1 offset0:54 offset1:60
	s_waitcnt vmcnt(6)
	v_lshrrev_b32_e32 v0, 16, v37
	v_mul_f16_sdwa v1, v16, v0 dst_sel:DWORD dst_unused:UNUSED_PAD src0_sel:WORD_1 src1_sel:DWORD
	v_mul_f16_sdwa v7, v16, v37 dst_sel:DWORD dst_unused:UNUSED_PAD src0_sel:WORD_1 src1_sel:DWORD
	v_fma_f16 v1, v16, v37, v1
	v_fma_f16 v0, v16, v0, -v7
	v_pack_b32_f16 v0, v1, v0
	s_waitcnt vmcnt(5)
	v_lshrrev_b32_e32 v1, 16, v38
	v_mul_f16_sdwa v7, v17, v1 dst_sel:DWORD dst_unused:UNUSED_PAD src0_sel:WORD_1 src1_sel:DWORD
	v_mul_f16_sdwa v9, v17, v38 dst_sel:DWORD dst_unused:UNUSED_PAD src0_sel:WORD_1 src1_sel:DWORD
	v_fma_f16 v7, v17, v38, v7
	v_fma_f16 v1, v17, v1, -v9
	v_pack_b32_f16 v1, v7, v1
	ds_write2_b32 v8, v0, v1 offset0:66 offset1:72
	s_waitcnt vmcnt(4)
	v_lshrrev_b32_e32 v0, 16, v3
	v_mul_f16_sdwa v1, v18, v0 dst_sel:DWORD dst_unused:UNUSED_PAD src0_sel:WORD_1 src1_sel:DWORD
	v_fma_f16 v1, v18, v3, v1
	v_mul_f16_sdwa v3, v18, v3 dst_sel:DWORD dst_unused:UNUSED_PAD src0_sel:WORD_1 src1_sel:DWORD
	v_fma_f16 v0, v18, v0, -v3
	v_pack_b32_f16 v0, v1, v0
	s_waitcnt vmcnt(3)
	v_lshrrev_b32_e32 v1, 16, v34
	v_mul_f16_sdwa v3, v19, v1 dst_sel:DWORD dst_unused:UNUSED_PAD src0_sel:WORD_1 src1_sel:DWORD
	v_mul_f16_sdwa v7, v19, v34 dst_sel:DWORD dst_unused:UNUSED_PAD src0_sel:WORD_1 src1_sel:DWORD
	v_fma_f16 v3, v19, v34, v3
	v_fma_f16 v1, v19, v1, -v7
	v_pack_b32_f16 v1, v3, v1
	ds_write2_b32 v8, v0, v1 offset0:78 offset1:84
	s_waitcnt vmcnt(2)
	v_lshrrev_b32_e32 v0, 16, v2
	v_mul_f16_sdwa v1, v24, v0 dst_sel:DWORD dst_unused:UNUSED_PAD src0_sel:WORD_1 src1_sel:DWORD
	v_fma_f16 v1, v24, v2, v1
	v_mul_f16_sdwa v2, v24, v2 dst_sel:DWORD dst_unused:UNUSED_PAD src0_sel:WORD_1 src1_sel:DWORD
	v_fma_f16 v0, v24, v0, -v2
	v_pack_b32_f16 v0, v1, v0
	s_waitcnt vmcnt(1)
	v_lshrrev_b32_e32 v1, 16, v5
	s_waitcnt vmcnt(0)
	v_mul_f16_sdwa v2, v6, v1 dst_sel:DWORD dst_unused:UNUSED_PAD src0_sel:WORD_1 src1_sel:DWORD
	v_mul_f16_sdwa v3, v6, v5 dst_sel:DWORD dst_unused:UNUSED_PAD src0_sel:WORD_1 src1_sel:DWORD
	v_fma_f16 v2, v6, v5, v2
	v_fma_f16 v1, v6, v1, -v3
	v_pack_b32_f16 v1, v2, v1
	ds_write2_b32 v8, v0, v1 offset0:90 offset1:96
.LBB0_3:
	s_or_b64 exec, exec, s[14:15]
	s_load_dwordx2 s[2:3], s[4:5], 0x20
	s_load_dwordx2 s[0:1], s[4:5], 0x8
	v_mov_b32_e32 v0, 0
	s_waitcnt lgkmcnt(0)
	s_barrier
	s_waitcnt lgkmcnt(0)
                                        ; implicit-def: $vgpr41
                                        ; implicit-def: $vgpr3
                                        ; implicit-def: $vgpr14
                                        ; implicit-def: $vgpr16
                                        ; implicit-def: $vgpr18
                                        ; implicit-def: $vgpr20
                                        ; implicit-def: $vgpr22
                                        ; implicit-def: $vgpr24
                                        ; implicit-def: $vgpr45
	s_and_saveexec_b64 s[4:5], vcc
	s_cbranch_execz .LBB0_5
; %bb.4:
	v_lshl_add_u32 v5, v30, 2, v26
	ds_read2_b32 v[0:1], v5 offset1:6
	ds_read2_b32 v[23:24], v5 offset0:12 offset1:18
	ds_read2_b32 v[21:22], v5 offset0:24 offset1:30
	;; [unrolled: 1-line block ×7, first 2 shown]
	ds_read_b32 v41, v5 offset:384
	s_waitcnt lgkmcnt(7)
	v_alignbit_b32 v45, v23, v23, 16
.LBB0_5:
	s_or_b64 exec, exec, s[4:5]
	s_waitcnt lgkmcnt(0)
	v_pk_add_f16 v12, v1, v41 neg_lo:[0,1] neg_hi:[0,1]
	s_mov_b32 s10, 0xbbf7
	v_pk_add_f16 v47, v41, v1
	s_movk_i32 s4, 0x2de8
	v_mul_f16_sdwa v44, v12, s10 dst_sel:DWORD dst_unused:UNUSED_PAD src0_sel:WORD_1 src1_sel:DWORD
	s_mov_b32 s9, 0xb1e1
	v_pk_add_f16 v48, v3, v45 op_sel:[1,0] op_sel_hi:[0,1]
	v_pk_add_f16 v11, v45, v3 op_sel:[1,0] op_sel_hi:[0,1] neg_lo:[0,1] neg_hi:[0,1]
	v_fma_f16 v5, v47, s4, v44
	s_mov_b32 s14, 0xbbb2
	s_mov_b32 s8, 0xbbdd
	v_lshrrev_b32_e32 v49, 16, v48
	v_mul_f16_sdwa v46, v11, s9 dst_sel:DWORD dst_unused:UNUSED_PAD src0_sel:WORD_1 src1_sel:DWORD
	s_mov_b32 s5, 0xb461
	v_fma_f16 v6, v49, s8, v46
	v_add_f16_e32 v5, v5, v0
	v_mul_f16_sdwa v51, v12, s14 dst_sel:DWORD dst_unused:UNUSED_PAD src0_sel:WORD_1 src1_sel:DWORD
	s_movk_i32 s21, 0x3836
	v_add_f16_e32 v5, v6, v5
	s_mov_b32 s11, 0xbacd
	v_fma_f16 v6, v47, s5, v51
	v_mul_f16_sdwa v53, v11, s21 dst_sel:DWORD dst_unused:UNUSED_PAD src0_sel:WORD_1 src1_sel:DWORD
	s_movk_i32 s20, 0x3bb2
	v_pk_add_f16 v23, v24, v2 neg_lo:[0,1] neg_hi:[0,1]
	v_add_f16_e32 v6, v6, v0
	v_fma_f16 v7, v49, s11, v53
	v_pk_add_f16 v58, v2, v24
	v_mul_f16_sdwa v50, v23, s20 dst_sel:DWORD dst_unused:UNUSED_PAD src0_sel:WORD_1 src1_sel:DWORD
	s_movk_i32 s23, 0x3964
	v_add_f16_e32 v6, v7, v6
	v_fma_f16 v7, v58, s5, v50
	s_movk_i32 s15, 0x39e9
	v_mul_f16_sdwa v55, v23, s23 dst_sel:DWORD dst_unused:UNUSED_PAD src0_sel:WORD_1 src1_sel:DWORD
	s_movk_i32 s18, 0x35c8
	v_pk_add_f16 v31, v21, v14 neg_lo:[0,1] neg_hi:[0,1]
	v_add_f16_e32 v5, v7, v5
	v_fma_f16 v7, v58, s15, v55
	s_movk_i32 s17, 0x3b76
	v_pk_add_f16 v61, v14, v21
	v_mul_f16_sdwa v52, v31, s18 dst_sel:DWORD dst_unused:UNUSED_PAD src0_sel:WORD_1 src1_sel:DWORD
	s_mov_b32 s19, 0xbb29
	v_add_f16_e32 v6, v7, v6
	v_fma_f16 v7, v61, s17, v52
	s_movk_i32 s16, 0x3722
	v_mul_f16_sdwa v57, v31, s19 dst_sel:DWORD dst_unused:UNUSED_PAD src0_sel:WORD_1 src1_sel:DWORD
	v_pk_add_f16 v32, v22, v13 neg_lo:[0,1] neg_hi:[0,1]
	v_add_f16_e32 v5, v7, v5
	v_fma_f16 v7, v61, s16, v57
	v_pk_add_f16 v64, v13, v22
	v_mul_f16_sdwa v54, v32, s19 dst_sel:DWORD dst_unused:UNUSED_PAD src0_sel:WORD_1 src1_sel:DWORD
	v_add_f16_e32 v6, v7, v6
	v_fma_f16 v7, v64, s16, v54
	v_mul_f16_sdwa v60, v32, s9 dst_sel:DWORD dst_unused:UNUSED_PAD src0_sel:WORD_1 src1_sel:DWORD
	s_mov_b32 s25, 0xb836
	v_pk_add_f16 v33, v19, v16 neg_lo:[0,1] neg_hi:[0,1]
	v_add_f16_e32 v5, v7, v5
	v_fma_f16 v7, v64, s8, v60
	v_pk_add_f16 v65, v16, v19
	v_mul_f16_sdwa v56, v33, s25 dst_sel:DWORD dst_unused:UNUSED_PAD src0_sel:WORD_1 src1_sel:DWORD
	s_movk_i32 s26, 0x3bf7
	v_add_f16_e32 v6, v7, v6
	v_fma_f16 v7, v65, s11, v56
	v_mul_f16_sdwa v63, v33, s26 dst_sel:DWORD dst_unused:UNUSED_PAD src0_sel:WORD_1 src1_sel:DWORD
	s_movk_i32 s27, 0x3a62
	v_pk_add_f16 v34, v20, v15 neg_lo:[0,1] neg_hi:[0,1]
	v_add_f16_e32 v5, v7, v5
	v_fma_f16 v7, v65, s4, v63
	s_mov_b32 s19, 0xb8d2
	v_pk_add_f16 v67, v15, v20
	v_mul_f16_sdwa v59, v34, s27 dst_sel:DWORD dst_unused:UNUSED_PAD src0_sel:WORD_1 src1_sel:DWORD
	s_mov_b32 s28, 0xb5c8
	v_add_f16_e32 v6, v7, v6
	v_fma_f16 v7, v67, s19, v59
	v_mul_f16_sdwa v66, v34, s28 dst_sel:DWORD dst_unused:UNUSED_PAD src0_sel:WORD_1 src1_sel:DWORD
	v_pk_add_f16 v39, v17, v18 neg_lo:[0,1] neg_hi:[0,1]
	v_add_f16_e32 v5, v7, v5
	v_fma_f16 v7, v67, s17, v66
	s_mov_b32 s24, 0xba62
	v_pk_add_f16 v68, v18, v17
	v_mul_f16_sdwa v62, v39, s23 dst_sel:DWORD dst_unused:UNUSED_PAD src0_sel:WORD_1 src1_sel:DWORD
	v_add_f16_e32 v7, v7, v6
	v_fma_f16 v6, v68, s15, v62
	v_mul_f16_sdwa v69, v39, s24 dst_sel:DWORD dst_unused:UNUSED_PAD src0_sel:WORD_1 src1_sel:DWORD
	v_add_f16_e32 v6, v6, v5
	v_fma_f16 v5, v68, s19, v69
	v_mul_f16_sdwa v9, v12, s24 dst_sel:DWORD dst_unused:UNUSED_PAD src0_sel:WORD_1 src1_sel:DWORD
	v_add_f16_e32 v5, v5, v7
	v_fma_f16 v7, v47, s19, -v9
	v_mul_f16_sdwa v10, v11, s20 dst_sel:DWORD dst_unused:UNUSED_PAD src0_sel:WORD_1 src1_sel:DWORD
	v_add_f16_e32 v7, v7, v0
	v_fma_f16 v8, v49, s5, -v10
	s_movk_i32 s22, 0x3b29
	v_mul_f16_sdwa v35, v12, s25 dst_sel:DWORD dst_unused:UNUSED_PAD src0_sel:WORD_1 src1_sel:DWORD
	v_add_f16_e32 v7, v8, v7
	v_fma_f16 v8, v47, s11, -v35
	v_mul_f16_sdwa v36, v11, s22 dst_sel:DWORD dst_unused:UNUSED_PAD src0_sel:WORD_1 src1_sel:DWORD
	v_add_f16_e32 v8, v8, v0
	v_fma_f16 v37, v49, s16, -v36
	v_add_f16_e32 v8, v37, v8
	v_mul_f16_sdwa v37, v23, s28 dst_sel:DWORD dst_unused:UNUSED_PAD src0_sel:WORD_1 src1_sel:DWORD
	v_fma_f16 v38, v58, s17, -v37
	v_add_f16_e32 v7, v38, v7
	v_mul_f16_sdwa v38, v23, s10 dst_sel:DWORD dst_unused:UNUSED_PAD src0_sel:WORD_1 src1_sel:DWORD
	;; [unrolled: 3-line block ×5, first 2 shown]
	v_fma_f16 v70, v64, s4, -v43
	v_fma_f16 v9, v47, s19, v9
	v_add_f16_e32 v7, v70, v7
	v_mul_f16_sdwa v70, v32, s28 dst_sel:DWORD dst_unused:UNUSED_PAD src0_sel:WORD_1 src1_sel:DWORD
	v_fma_f16 v10, v49, s5, v10
	v_add_f16_e32 v9, v9, v0
	v_fma_f16 v71, v64, s17, -v70
	s_mov_b32 s25, 0xb964
	v_add_f16_e32 v9, v10, v9
	v_fma_f16 v10, v47, s11, v35
	v_add_f16_e32 v8, v71, v8
	v_mul_f16_sdwa v71, v33, s25 dst_sel:DWORD dst_unused:UNUSED_PAD src0_sel:WORD_1 src1_sel:DWORD
	v_fma_f16 v35, v49, s16, v36
	v_add_f16_e32 v10, v10, v0
	v_fma_f16 v72, v65, s15, -v71
	v_add_f16_e32 v10, v35, v10
	v_fma_f16 v35, v58, s17, v37
	v_add_f16_e32 v7, v72, v7
	v_mul_f16_sdwa v72, v33, s9 dst_sel:DWORD dst_unused:UNUSED_PAD src0_sel:WORD_1 src1_sel:DWORD
	v_add_f16_e32 v9, v35, v9
	v_fma_f16 v35, v58, s4, v38
	v_fma_f16 v73, v65, s8, -v72
	v_add_f16_e32 v10, v35, v10
	v_fma_f16 v35, v61, s11, v40
	v_add_f16_e32 v8, v73, v8
	v_mul_f16_sdwa v73, v34, s9 dst_sel:DWORD dst_unused:UNUSED_PAD src0_sel:WORD_1 src1_sel:DWORD
	v_add_f16_e32 v9, v35, v9
	v_fma_f16 v35, v61, s19, v42
	v_fma_f16 v74, v67, s8, -v73
	v_add_f16_e32 v10, v35, v10
	v_fma_f16 v35, v64, s4, v43
	v_add_f16_e32 v7, v74, v7
	v_mul_f16_sdwa v74, v34, s23 dst_sel:DWORD dst_unused:UNUSED_PAD src0_sel:WORD_1 src1_sel:DWORD
	v_add_f16_e32 v9, v35, v9
	v_fma_f16 v35, v64, s17, v70
	v_fma_f16 v75, v67, s15, -v74
	v_add_f16_e32 v10, v35, v10
	v_fma_f16 v35, v65, s15, v71
	v_add_f16_e32 v8, v75, v8
	v_mul_f16_sdwa v75, v39, s22 dst_sel:DWORD dst_unused:UNUSED_PAD src0_sel:WORD_1 src1_sel:DWORD
	v_add_f16_e32 v9, v35, v9
	v_fma_f16 v35, v65, s8, v72
	v_fma_f16 v76, v68, s16, -v75
	v_add_f16_e32 v10, v35, v10
	v_fma_f16 v35, v67, s8, v73
	v_add_f16_e32 v7, v76, v7
	v_mul_f16_sdwa v76, v39, s14 dst_sel:DWORD dst_unused:UNUSED_PAD src0_sel:WORD_1 src1_sel:DWORD
	v_add_f16_e32 v9, v35, v9
	v_fma_f16 v35, v67, s15, v74
	v_add_f16_e32 v35, v35, v10
	v_fma_f16 v10, v68, s16, v75
	v_fma_f16 v36, v68, s5, v76
	v_mul_f16_sdwa v70, v12, s25 dst_sel:DWORD dst_unused:UNUSED_PAD src0_sel:WORD_1 src1_sel:DWORD
	v_add_f16_e32 v10, v10, v9
	v_add_f16_e32 v9, v36, v35
	v_fma_f16 v35, v47, s15, v70
	v_mul_f16_sdwa v71, v11, s10 dst_sel:DWORD dst_unused:UNUSED_PAD src0_sel:WORD_1 src1_sel:DWORD
	v_add_f16_e32 v35, v35, v0
	v_fma_f16 v36, v49, s4, v71
	v_lshrrev_b32_e32 v86, 16, v47
	v_mul_f16_e32 v72, 0xbb29, v12
	v_add_f16_e32 v35, v36, v35
	v_fma_f16 v36, v86, s16, -v72
	v_mul_f16_e32 v73, 0xba62, v11
	v_add_f16_sdwa v36, v36, v0 dst_sel:DWORD dst_unused:UNUSED_PAD src0_sel:DWORD src1_sel:WORD_1
	v_fma_f16 v37, v48, s19, -v73
	v_mul_f16_e32 v75, 0xbbf7, v12
	v_fma_f16 v77, v68, s5, -v76
	v_add_f16_e32 v36, v37, v36
	v_fma_f16 v37, v86, s4, -v75
	v_mul_f16_e32 v76, 0xb1e1, v11
	v_add_f16_sdwa v37, v37, v0 dst_sel:DWORD dst_unused:UNUSED_PAD src0_sel:DWORD src1_sel:WORD_1
	v_fma_f16 v38, v48, s8, -v76
	v_mul_f16_e32 v81, 0xbbb2, v12
	v_add_f16_e32 v37, v38, v37
	v_fma_f16 v38, v86, s5, -v81
	v_mul_f16_e32 v82, 0x3836, v11
	v_add_f16_sdwa v38, v38, v0 dst_sel:DWORD dst_unused:UNUSED_PAD src0_sel:DWORD src1_sel:WORD_1
	v_fma_f16 v40, v48, s11, -v82
	v_add_f16_e32 v38, v40, v38
	v_mul_f16_e32 v40, 0xba62, v12
	v_fma_f16 v42, v86, s19, v40
	v_mul_f16_e32 v43, 0x3bb2, v11
	v_fma_f16 v40, v86, s19, -v40
	v_fma_f16 v74, v48, s5, v43
	v_fma_f16 v43, v48, s5, -v43
	v_add_f16_sdwa v40, v40, v0 dst_sel:DWORD dst_unused:UNUSED_PAD src0_sel:DWORD src1_sel:WORD_1
	v_add_f16_sdwa v42, v42, v0 dst_sel:DWORD dst_unused:UNUSED_PAD src0_sel:DWORD src1_sel:WORD_1
	v_add_f16_e32 v40, v43, v40
	v_mul_f16_e32 v43, 0xb836, v12
	v_add_f16_e32 v8, v77, v8
	v_add_f16_e32 v42, v74, v42
	v_fma_f16 v74, v86, s11, v43
	v_mul_f16_e32 v77, 0x3b29, v11
	v_add_f16_sdwa v74, v74, v0 dst_sel:DWORD dst_unused:UNUSED_PAD src0_sel:DWORD src1_sel:WORD_1
	v_fma_f16 v78, v48, s16, v77
	v_fma_f16 v43, v86, s11, -v43
	v_add_f16_e32 v79, v78, v74
	v_fma_f16 v74, v48, s16, -v77
	v_add_f16_sdwa v43, v43, v0 dst_sel:DWORD dst_unused:UNUSED_PAD src0_sel:DWORD src1_sel:WORD_1
	v_add_f16_e32 v43, v74, v43
	v_mul_f16_e32 v74, 0xb1e1, v12
	v_fma_f16 v77, v86, s8, v74
	v_mul_f16_e32 v78, 0x35c8, v11
	v_fma_f16 v74, v86, s8, -v74
	v_add_f16_sdwa v77, v77, v0 dst_sel:DWORD dst_unused:UNUSED_PAD src0_sel:DWORD src1_sel:WORD_1
	v_fma_f16 v80, v48, s17, v78
	v_fma_f16 v78, v48, s17, -v78
	v_add_f16_sdwa v74, v74, v0 dst_sel:DWORD dst_unused:UNUSED_PAD src0_sel:DWORD src1_sel:WORD_1
	v_add_f16_e32 v77, v80, v77
	v_add_f16_e32 v80, v78, v74
	v_mul_f16_sdwa v74, v23, s24 dst_sel:DWORD dst_unused:UNUSED_PAD src0_sel:WORD_1 src1_sel:DWORD
	v_fma_f16 v78, v58, s19, v74
	v_add_f16_e32 v35, v78, v35
	v_lshrrev_b32_e32 v95, 16, v58
	v_mul_f16_e32 v78, 0x31e1, v23
	v_fma_f16 v83, v95, s8, -v78
	v_add_f16_e32 v36, v83, v36
	v_mul_f16_e32 v83, 0x3bb2, v23
	v_fma_f16 v84, v95, s5, -v83
	v_mul_f16_e32 v88, 0x3964, v23
	v_add_f16_e32 v37, v84, v37
	v_fma_f16 v84, v95, s15, -v88
	v_add_f16_e32 v38, v84, v38
	v_mul_f16_e32 v84, 0xb5c8, v23
	v_fma_f16 v85, v95, s17, v84
	v_fma_f16 v84, v95, s17, -v84
	v_add_f16_e32 v40, v84, v40
	v_mul_f16_e32 v84, 0xbbf7, v23
	v_add_f16_e32 v42, v85, v42
	v_fma_f16 v85, v95, s4, v84
	v_fma_f16 v84, v95, s4, -v84
	v_add_f16_e32 v43, v84, v43
	v_mul_f16_e32 v84, 0xb836, v23
	v_add_f16_e32 v79, v85, v79
	v_fma_f16 v85, v95, s11, v84
	v_add_f16_e32 v85, v85, v77
	v_fma_f16 v77, v95, s11, -v84
	v_add_f16_e32 v84, v77, v80
	v_mul_f16_sdwa v77, v31, s9 dst_sel:DWORD dst_unused:UNUSED_PAD src0_sel:WORD_1 src1_sel:DWORD
	v_fma_f16 v80, v61, s8, v77
	v_add_f16_e32 v35, v80, v35
	v_lshrrev_b32_e32 v106, 16, v61
	v_mul_f16_e32 v80, 0x3bb2, v31
	v_fma_f16 v87, v106, s5, -v80
	v_add_f16_e32 v36, v87, v36
	v_mul_f16_e32 v87, 0x35c8, v31
	v_fma_f16 v89, v106, s17, -v87
	v_mul_f16_e32 v94, 0xbb29, v31
	v_add_f16_e32 v37, v89, v37
	v_fma_f16 v89, v106, s16, -v94
	v_add_f16_e32 v38, v89, v38
	v_mul_f16_e32 v89, 0xb836, v31
	v_fma_f16 v90, v106, s11, v89
	v_fma_f16 v89, v106, s11, -v89
	v_add_f16_e32 v40, v89, v40
	v_mul_f16_e32 v89, 0x3a62, v31
	v_add_f16_e32 v42, v90, v42
	v_fma_f16 v90, v106, s19, v89
	v_add_f16_e32 v90, v90, v79
	v_fma_f16 v79, v106, s19, -v89
	v_add_f16_e32 v43, v79, v43
	v_mul_f16_e32 v79, 0x3964, v31
	v_fma_f16 v89, v106, s15, v79
	v_fma_f16 v79, v106, s15, -v79
	v_add_f16_e32 v84, v79, v84
	v_mul_f16_sdwa v79, v32, s21 dst_sel:DWORD dst_unused:UNUSED_PAD src0_sel:WORD_1 src1_sel:DWORD
	v_add_f16_e32 v89, v89, v85
	v_fma_f16 v85, v64, s11, v79
	v_add_f16_e32 v35, v85, v35
	v_lshrrev_b32_e32 v119, 16, v64
	v_mul_f16_e32 v85, 0x3964, v32
	v_fma_f16 v91, v119, s15, -v85
	v_add_f16_e32 v36, v91, v36
	v_mul_f16_e32 v91, 0xbb29, v32
	v_fma_f16 v92, v119, s16, -v91
	v_mul_f16_e32 v107, 0xb1e1, v32
	v_add_f16_e32 v37, v92, v37
	v_fma_f16 v92, v119, s8, -v107
	v_add_f16_e32 v38, v92, v38
	v_mul_f16_e32 v92, 0x3bf7, v32
	v_fma_f16 v93, v119, s4, v92
	v_fma_f16 v92, v119, s4, -v92
	v_add_f16_e32 v40, v92, v40
	v_mul_f16_e32 v92, 0xb5c8, v32
	v_add_f16_e32 v42, v93, v42
	v_fma_f16 v93, v119, s17, v92
	v_add_f16_e32 v93, v93, v90
	v_fma_f16 v90, v119, s17, -v92
	v_add_f16_e32 v43, v90, v43
	v_mul_f16_e32 v90, 0xba62, v32
	v_fma_f16 v92, v119, s19, v90
	v_fma_f16 v90, v119, s19, -v90
	v_add_f16_e32 v89, v92, v89
	v_add_f16_e32 v92, v90, v84
	v_mul_f16_sdwa v84, v33, s20 dst_sel:DWORD dst_unused:UNUSED_PAD src0_sel:WORD_1 src1_sel:DWORD
	v_fma_f16 v90, v65, s5, v84
	v_add_f16_e32 v35, v90, v35
	v_lshrrev_b32_e32 v130, 16, v65
	v_mul_f16_e32 v90, 0xb5c8, v33
	v_fma_f16 v96, v130, s17, -v90
	v_mul_f16_e32 v103, 0xb836, v33
	v_add_f16_e32 v36, v96, v36
	v_fma_f16 v96, v130, s11, -v103
	v_mul_f16_e32 v120, 0x3bf7, v33
	v_add_f16_e32 v37, v96, v37
	v_fma_f16 v96, v130, s4, -v120
	v_add_f16_e32 v38, v96, v38
	v_mul_f16_e32 v96, 0xb964, v33
	v_fma_f16 v97, v130, s15, v96
	v_fma_f16 v96, v130, s15, -v96
	v_add_f16_e32 v40, v96, v40
	v_mul_f16_e32 v96, 0xb1e1, v33
	v_add_f16_e32 v42, v97, v42
	v_fma_f16 v97, v130, s8, v96
	v_fma_f16 v96, v130, s8, -v96
	v_add_f16_e32 v43, v96, v43
	v_mul_f16_e32 v96, 0x3b29, v33
	v_add_f16_e32 v93, v97, v93
	v_fma_f16 v97, v130, s16, v96
	v_add_f16_e32 v97, v97, v89
	v_fma_f16 v89, v130, s16, -v96
	v_add_f16_e32 v92, v89, v92
	v_mul_f16_sdwa v89, v34, s22 dst_sel:DWORD dst_unused:UNUSED_PAD src0_sel:WORD_1 src1_sel:DWORD
	v_fma_f16 v96, v67, s16, v89
	v_lshrrev_b32_e32 v141, 16, v67
	v_mul_f16_e32 v98, 0xbbf7, v34
	v_add_f16_e32 v35, v96, v35
	v_fma_f16 v96, v141, s4, -v98
	v_mul_f16_e32 v115, 0x3a62, v34
	v_add_f16_e32 v36, v96, v36
	v_fma_f16 v96, v141, s19, -v115
	v_mul_f16_e32 v134, 0xb5c8, v34
	v_add_f16_e32 v37, v96, v37
	v_fma_f16 v96, v141, s17, -v134
	v_add_f16_e32 v38, v96, v38
	v_mul_f16_e32 v96, 0xb1e1, v34
	v_fma_f16 v99, v141, s8, v96
	v_fma_f16 v96, v141, s8, -v96
	v_add_f16_e32 v40, v96, v40
	v_mul_f16_e32 v96, 0x3964, v34
	v_add_f16_e32 v42, v99, v42
	v_fma_f16 v99, v141, s15, v96
	v_add_f16_e32 v152, v99, v93
	v_fma_f16 v93, v141, s15, -v96
	v_add_f16_e32 v43, v93, v43
	v_mul_f16_e32 v93, 0xbbb2, v34
	v_fma_f16 v96, v141, s5, v93
	v_fma_f16 v93, v141, s5, -v93
	s_mov_b32 s8, 0x39e93722
	v_add_f16_e32 v157, v93, v92
	s_mov_b32 s9, 0xbb29b964
	v_pk_mul_f16 v92, v47, s8
	v_pk_fma_f16 v109, v12, s9, v92 op_sel:[0,0,1] op_sel_hi:[1,1,0] neg_lo:[1,0,0] neg_hi:[1,0,0]
	v_pk_fma_f16 v110, v12, s9, v92 op_sel:[0,0,1] op_sel_hi:[1,1,0]
	s_mov_b32 s8, 0x3b76bbdd
	s_mov_b32 s9, 0xb5c8b1e1
	v_mul_f16_e32 v99, 0xb5c8, v12
	v_pk_mul_f16 v92, v12, s9 op_sel:[1,0]
	v_mul_f16_e32 v100, 0x3b76, v86
	v_pk_mul_f16 v93, v47, s8 op_sel_hi:[0,1]
	v_add_f16_e32 v154, v96, v97
	v_pack_b32_f16 v12, v100, v93
	v_pack_b32_f16 v96, v99, v92
	s_mov_b32 s9, 0x39e93b76
	s_mov_b32 s10, 0xb96435c8
	v_pk_add_f16 v12, v12, v96 neg_lo:[0,1] neg_hi:[0,1]
	v_mul_f16_e32 v102, 0x39e9, v48
	v_mul_f16_e32 v104, 0xb964, v11
	v_pk_mul_f16 v96, v48, s9 op_sel:[1,0]
	v_pk_mul_f16 v97, v11, s10 op_sel:[1,0]
	v_pack_b32_f16 v101, v102, v96
	v_pack_b32_f16 v105, v104, v97
	v_pk_add_f16 v101, v101, v105 neg_lo:[0,1] neg_hi:[0,1]
	v_pk_add_f16 v12, v12, v0 op_sel:[0,1] op_sel_hi:[1,0]
	s_mov_b32 s10, 0xb8d2bbdd
	v_pk_add_f16 v12, v101, v12
	s_mov_b32 s14, 0x31e1ba62
	v_pk_mul_f16 v101, v58, s10
	v_pk_fma_f16 v121, v23, s14, v101 op_sel:[0,0,1] op_sel_hi:[1,1,0] neg_lo:[1,0,0] neg_hi:[1,0,0]
	v_pk_fma_f16 v122, v23, s14, v101 op_sel:[0,0,1] op_sel_hi:[1,1,0]
	s_mov_b32 s10, 0x3722bacd
	s_mov_b32 s14, 0xbb29b836
	v_mul_f16_e32 v111, 0xbb29, v23
	v_pk_mul_f16 v101, v23, s14 op_sel:[1,0]
	v_mul_f16_e32 v113, 0x3722, v95
	v_pk_mul_f16 v105, v58, s10 op_sel_hi:[0,1]
	v_pack_b32_f16 v23, v113, v105
	v_pack_b32_f16 v108, v111, v101
	v_pk_add_f16 v23, v23, v108 neg_lo:[0,1] neg_hi:[0,1]
	s_mov_b32 s14, 0xbbddb461
	v_pk_add_f16 v12, v23, v12
	s_mov_b32 s20, 0x3bb2b1e1
	v_pk_mul_f16 v23, v61, s14
	v_pk_fma_f16 v127, v31, s20, v23 op_sel:[0,0,1] op_sel_hi:[1,1,0] neg_lo:[1,0,0] neg_hi:[1,0,0]
	v_pk_fma_f16 v128, v31, s20, v23 op_sel:[0,0,1] op_sel_hi:[1,1,0]
	s_mov_b32 s14, 0x2de839e9
	s_mov_b32 s20, 0xbbf73964
	v_mul_f16_e32 v116, 0xbbf7, v31
	v_pk_mul_f16 v108, v31, s20 op_sel:[1,0]
	v_mul_f16_e32 v118, 0x2de8, v106
	v_pk_mul_f16 v112, v61, s14 op_sel_hi:[0,1]
	v_pack_b32_f16 v23, v118, v112
	v_pack_b32_f16 v31, v116, v108
	v_pk_add_f16 v23, v23, v31 neg_lo:[0,1] neg_hi:[0,1]
	;; [unrolled: 15-line block ×4, first 2 shown]
	s_mov_b32 s22, 0x37222de8
	v_pk_add_f16 v12, v23, v12
	s_mov_b32 s23, 0xbbf73b29
	v_pk_mul_f16 v23, v67, s22
	v_pk_fma_f16 v146, v34, s23, v23 op_sel:[0,0,1] op_sel_hi:[1,1,0] neg_lo:[1,0,0] neg_hi:[1,0,0]
	v_pk_fma_f16 v147, v34, s23, v23 op_sel:[0,0,1] op_sel_hi:[1,1,0]
	s_mov_b32 s22, 0xbacdb461
	s_mov_b32 s23, 0xb836bbb2
	v_mul_f16_e32 v139, 0xb836, v34
	v_pk_mul_f16 v129, v34, s23 op_sel:[1,0]
	v_mul_f16_e32 v140, 0xbacd, v141
	v_pk_mul_f16 v132, v67, s22 op_sel_hi:[0,1]
	v_pack_b32_f16 v23, v140, v132
	v_pack_b32_f16 v31, v139, v129
	s_mov_b32 s23, 0xbbdd2de8
	s_mov_b32 s24, 0xb1e13bf7
	v_lshrrev_b32_e32 v155, 16, v68
	v_pk_add_f16 v23, v23, v31 neg_lo:[0,1] neg_hi:[0,1]
	v_mul_f16_e32 v142, 0xbbdd, v155
	v_mul_f16_e32 v143, 0xb1e1, v39
	v_pk_mul_f16 v135, v68, s23 op_sel_hi:[0,1]
	v_pk_mul_f16 v136, v39, s24 op_sel:[1,0]
	v_pk_add_f16 v23, v23, v12
	v_pack_b32_f16 v12, v142, v135
	v_pack_b32_f16 v31, v143, v136
	s_mov_b32 s25, 0xba62bbf7
	v_mul_f16_sdwa v148, v39, s18 dst_sel:DWORD dst_unused:UNUSED_PAD src0_sel:WORD_1 src1_sel:DWORD
	v_mul_f16_e32 v151, 0xb836, v39
	v_pk_add_f16 v158, v12, v31 neg_lo:[0,1] neg_hi:[0,1]
	v_pk_mul_f16 v159, v11, s25
	v_fma_f16 v11, v68, s17, v148
	v_fma_f16 v31, v155, s11, -v151
	v_mul_f16_e32 v153, 0x3964, v39
	v_add_f16_e32 v12, v11, v35
	v_add_f16_e32 v35, v31, v36
	v_fma_f16 v31, v155, s15, -v153
	v_mul_f16_e32 v156, 0xba62, v39
	v_add_f16_e32 v37, v31, v37
	v_fma_f16 v31, v155, s19, -v156
	v_mul_f16_e32 v32, 0x3b29, v39
	v_add_f16_e32 v33, v31, v38
	v_fma_f16 v31, v155, s16, v32
	v_fma_f16 v32, v155, s16, -v32
	v_add_f16_e32 v38, v32, v40
	v_pk_fma_f16 v40, v47, s8, v92 op_sel_hi:[0,1,1]
	v_add_f16_e32 v31, v31, v42
	v_pk_add_f16 v40, v40, v0 op_sel_hi:[1,0]
	v_pk_fma_f16 v42, v48, s9, v97 op_sel:[1,0,0]
	v_pk_add_f16 v40, v42, v40
	v_pk_fma_f16 v42, v58, s10, v101 op_sel_hi:[0,1,1]
	v_pk_add_f16 v40, v42, v40
	v_pk_fma_f16 v42, v61, s14, v108 op_sel_hi:[0,1,1]
	;; [unrolled: 2-line block ×3, first 2 shown]
	s_mov_b32 s25, 0x3b76bacd
	v_mul_f16_e32 v36, 0xbbb2, v39
	v_pk_add_f16 v40, v42, v40
	v_pk_fma_f16 v42, v65, s21, v123 op_sel_hi:[0,1,1]
	s_mov_b32 s26, 0xb83635c8
	v_pk_mul_f16 v34, v68, s25
	v_fma_f16 v32, v155, s5, v36
	v_pk_add_f16 v40, v42, v40
	v_pk_fma_f16 v42, v67, s22, v129 op_sel_hi:[0,1,1]
	v_pk_fma_f16 v150, v39, s26, v34 op_sel:[0,0,1] op_sel_hi:[1,1,0]
	v_add_f16_e32 v32, v32, v152
	v_fma_f16 v36, v155, s5, -v36
	v_pk_fma_f16 v152, v39, s26, v34 op_sel:[0,0,1] op_sel_hi:[1,1,0] neg_lo:[1,0,0] neg_hi:[1,0,0]
	v_mul_f16_e32 v39, 0x3bf7, v39
	v_pk_add_f16 v42, v42, v40
	v_pk_add_f16 v40, v158, v23
	v_pk_fma_f16 v23, v68, s23, v136 op_sel_hi:[0,1,1]
	s_mov_b32 s24, 0xb8d22de8
	v_add_f16_e32 v36, v36, v43
	v_fma_f16 v34, v155, s4, v39
	v_pk_add_f16 v43, v23, v42
	v_fma_f16 v23, v155, s4, -v39
	v_pk_fma_f16 v149, v48, s24, v159
	v_add_f16_sdwa v11, v110, v0 dst_sel:DWORD dst_unused:UNUSED_PAD src0_sel:WORD_1 src1_sel:DWORD
	v_add_f16_e32 v34, v34, v154
	v_add_f16_e32 v39, v23, v157
	v_pk_fma_f16 v154, v48, s24, v159 neg_lo:[0,0,1] neg_hi:[0,0,1]
	v_add_f16_sdwa v23, v109, v0 dst_sel:DWORD dst_unused:UNUSED_PAD src0_sel:DWORD src1_sel:WORD_1
	v_add_f16_sdwa v11, v149, v11 dst_sel:DWORD dst_unused:UNUSED_PAD src0_sel:WORD_1 src1_sel:DWORD
	v_add_f16_e32 v23, v154, v23
	v_add_f16_sdwa v11, v122, v11 dst_sel:DWORD dst_unused:UNUSED_PAD src0_sel:WORD_1 src1_sel:DWORD
	v_add_f16_e32 v23, v121, v23
	;; [unrolled: 2-line block ×7, first 2 shown]
	v_mul_lo_u16_e32 v23, 17, v25
	s_barrier
	s_and_saveexec_b64 s[4:5], vcc
	s_cbranch_execz .LBB0_7
; %bb.6:
	v_mul_f16_e32 v159, 0x2de8, v47
	v_mul_f16_e32 v163, 0xbbdd, v49
	v_sub_f16_e32 v44, v159, v44
	v_mul_f16_e32 v167, 0xb461, v58
	v_add_f16_e32 v44, v44, v0
	v_sub_f16_e32 v46, v163, v46
	v_mul_f16_e32 v157, 0x39e9, v47
	v_mul_f16_e32 v47, 0xb461, v47
	;; [unrolled: 1-line block ×3, first 2 shown]
	v_add_f16_e32 v44, v46, v44
	v_sub_f16_e32 v46, v167, v50
	v_mul_f16_e32 v161, 0x2de8, v49
	v_mul_f16_e32 v49, 0xbacd, v49
	;; [unrolled: 1-line block ×3, first 2 shown]
	v_sub_f16_e32 v47, v47, v51
	v_add_f16_e32 v44, v46, v44
	v_sub_f16_e32 v46, v171, v52
	v_mul_f16_e32 v165, 0xb8d2, v58
	v_mul_f16_e32 v58, 0x39e9, v58
	;; [unrolled: 1-line block ×3, first 2 shown]
	v_add_f16_e32 v47, v47, v0
	v_sub_f16_e32 v49, v49, v53
	v_add_f16_e32 v44, v46, v44
	v_sub_f16_e32 v46, v175, v54
	v_mul_f16_e32 v183, 0xb8d2, v67
	v_add_f16_e32 v47, v49, v47
	v_sub_f16_e32 v49, v58, v55
	v_add_f16_e32 v44, v46, v44
	v_sub_f16_e32 v46, v179, v56
	v_sub_f16_e32 v58, v157, v70
	v_add_f16_e32 v44, v46, v44
	v_sub_f16_e32 v46, v183, v59
	v_add_f16_e32 v58, v58, v0
	v_sub_f16_e32 v59, v161, v71
	v_mul_f16_e32 v169, 0xbbdd, v61
	v_mul_f16_e32 v61, 0x3722, v61
	v_add_f16_e32 v58, v59, v58
	v_sub_f16_e32 v59, v165, v74
	v_mul_f16_e32 v173, 0xbacd, v64
	v_mul_f16_e32 v64, 0xbbdd, v64
	v_add_f16_e32 v47, v49, v47
	v_sub_f16_e32 v49, v61, v57
	v_add_f16_e32 v58, v59, v58
	v_sub_f16_e32 v59, v169, v77
	v_mul_f16_e32 v177, 0xb461, v65
	v_mul_f16_e32 v65, 0x2de8, v65
	v_add_f16_e32 v47, v49, v47
	v_sub_f16_e32 v49, v64, v60
	;; [unrolled: 6-line block ×3, first 2 shown]
	v_add_f16_e32 v58, v59, v58
	v_sub_f16_e32 v59, v177, v84
	v_mul_f16_e32 v185, 0x3b76, v68
	v_mul_f16_e32 v187, 0x39e9, v68
	;; [unrolled: 1-line block ×3, first 2 shown]
	v_add_f16_e32 v47, v49, v47
	v_sub_f16_e32 v49, v67, v66
	v_add_f16_e32 v58, v59, v58
	v_sub_f16_e32 v59, v181, v89
	v_mul_f16_e32 v158, 0x3722, v86
	v_mul_f16_e32 v160, 0x2de8, v86
	;; [unrolled: 1-line block ×3, first 2 shown]
	v_add_f16_e32 v47, v49, v47
	v_sub_f16_e32 v49, v68, v69
	v_add_f16_e32 v44, v46, v44
	v_sub_f16_e32 v46, v187, v62
	;; [unrolled: 2-line block ×3, first 2 shown]
	v_alignbit_b32 v189, v0, v0, 16
	v_add_f16_e32 v81, v81, v86
	v_add_f16_e32 v47, v49, v47
	;; [unrolled: 1-line block ×7, first 2 shown]
	v_alignbit_b32 v45, v45, v45, 16
	v_add_f16_sdwa v81, v81, v0 dst_sel:DWORD dst_unused:UNUSED_PAD src0_sel:DWORD src1_sel:WORD_1
	v_add_f16_sdwa v49, v49, v0 dst_sel:DWORD dst_unused:UNUSED_PAD src0_sel:DWORD src1_sel:WORD_1
	;; [unrolled: 1-line block ×4, first 2 shown]
	v_add_f16_e32 v59, v104, v102
	v_pk_add_f16 v1, v1, v189 op_sel:[0,1] op_sel_hi:[1,0]
	v_add_f16_e32 v0, v59, v0
	v_add_f16_e32 v59, v111, v113
	v_pk_add_f16 v1, v45, v1
	v_add_f16_e32 v0, v59, v0
	v_add_f16_e32 v59, v116, v118
	v_pk_add_f16 v1, v24, v1
	;; [unrolled: 3-line block ×5, first 2 shown]
	v_add_f16_e32 v0, v59, v0
	v_add_f16_e32 v59, v143, v142
	v_sub_f16_sdwa v60, v93, v92 dst_sel:DWORD dst_unused:UNUSED_PAD src0_sel:WORD_1 src1_sel:WORD_1
	v_pk_add_f16 v1, v20, v1
	v_mul_f16_e32 v162, 0xb8d2, v48
	v_add_f16_e32 v0, v59, v0
	v_sub_f16_sdwa v59, v96, v97 dst_sel:DWORD dst_unused:UNUSED_PAD src0_sel:WORD_1 src1_sel:WORD_1
	v_add_f16_sdwa v60, v60, v189 dst_sel:DWORD dst_unused:UNUSED_PAD src0_sel:DWORD src1_sel:WORD_1
	v_pk_add_f16 v1, v17, v1
	v_mul_f16_e32 v164, 0xbbdd, v48
	v_mul_f16_e32 v166, 0xbbdd, v95
	v_add_f16_e32 v50, v73, v162
	v_add_f16_e32 v59, v59, v60
	v_sub_f16_sdwa v60, v105, v101 dst_sel:DWORD dst_unused:UNUSED_PAD src0_sel:WORD_1 src1_sel:WORD_1
	v_pk_add_f16 v1, v18, v1
	v_mul_f16_e32 v168, 0xb461, v95
	v_mul_f16_e32 v170, 0xb461, v106
	v_add_f16_e32 v51, v76, v164
	v_add_f16_e32 v46, v50, v46
	v_add_f16_e32 v50, v78, v166
	v_add_f16_e32 v59, v60, v59
	v_sub_f16_sdwa v60, v112, v108 dst_sel:DWORD dst_unused:UNUSED_PAD src0_sel:WORD_1 src1_sel:WORD_1
	v_pk_add_f16 v1, v15, v1
	v_mul_f16_e32 v172, 0x3b76, v106
	v_mul_f16_e32 v174, 0x39e9, v119
	v_add_f16_e32 v49, v51, v49
	v_add_f16_e32 v51, v83, v168
	v_add_f16_e32 v46, v50, v46
	v_add_f16_e32 v50, v80, v170
	v_add_f16_e32 v59, v60, v59
	v_sub_f16_sdwa v60, v117, v114 dst_sel:DWORD dst_unused:UNUSED_PAD src0_sel:WORD_1 src1_sel:WORD_1
	v_pk_add_f16 v1, v16, v1
	v_mul_f16_e32 v176, 0x3722, v119
	v_mul_f16_e32 v178, 0x3b76, v130
	v_add_f16_e32 v49, v51, v49
	;; [unrolled: 9-line block ×4, first 2 shown]
	v_add_f16_e32 v51, v103, v180
	v_add_f16_e32 v46, v50, v46
	;; [unrolled: 1-line block ×4, first 2 shown]
	v_sub_f16_sdwa v60, v135, v136 dst_sel:DWORD dst_unused:UNUSED_PAD src0_sel:WORD_1 src1_sel:WORD_1
	v_pk_add_f16 v1, v2, v1
	v_mul_f16_e32 v188, 0x39e9, v155
	v_add_f16_e32 v49, v51, v49
	v_add_f16_e32 v51, v115, v184
	;; [unrolled: 1-line block ×4, first 2 shown]
	s_mov_b32 s8, 0xffff
	v_add_f16_e32 v59, v60, v59
	v_pk_add_f16 v1, v3, v1
	v_add_f16_e32 v49, v51, v49
	v_add_f16_e32 v51, v153, v188
	;; [unrolled: 1-line block ×3, first 2 shown]
	v_bfi_b32 v50, s8, v110, v109
	v_add_lshl_u32 v21, v30, v23, 2
	v_pk_add_f16 v1, v41, v1
	v_pack_b32_f16 v0, v59, v0
	v_mul_f16_e32 v48, 0xbacd, v48
	v_add_f16_e32 v49, v51, v49
	v_bfi_b32 v51, s8, v149, v154
	ds_write2_b32 v21, v1, v0 offset1:1
	v_pk_add_f16 v0, v50, v189
	v_mul_f16_e32 v95, 0x39e9, v95
	v_add_f16_e32 v48, v82, v48
	v_bfi_b32 v52, s8, v122, v121
	v_pk_add_f16 v0, v51, v0
	v_mul_f16_e32 v106, 0x3722, v106
	v_add_f16_e32 v48, v48, v81
	v_add_f16_e32 v81, v88, v95
	v_bfi_b32 v53, s8, v128, v127
	v_pk_add_f16 v0, v52, v0
	v_mul_f16_e32 v119, 0xbbdd, v119
	v_add_f16_e32 v48, v81, v48
	;; [unrolled: 5-line block ×5, first 2 shown]
	v_add_f16_e32 v81, v134, v141
	v_bfi_b32 v57, s8, v150, v152
	v_pk_add_f16 v0, v56, v0
	v_add_f16_e32 v48, v81, v48
	v_add_f16_e32 v81, v156, v155
	v_pk_add_f16 v0, v57, v0
	v_add_f16_e32 v48, v81, v48
	v_alignbit_b32 v1, v46, v0, 16
	v_pack_b32_f16 v0, v58, v0
	ds_write2_b32 v21, v0, v1 offset0:2 offset1:3
	v_pack_b32_f16 v0, v47, v48
	v_pack_b32_f16 v1, v44, v49
	s_mov_b32 s8, 0x5040100
	ds_write2_b32 v21, v1, v0 offset0:4 offset1:5
	v_perm_b32 v0, v32, v8, s8
	v_perm_b32 v1, v31, v7, s8
	ds_write2_b32 v21, v1, v0 offset0:6 offset1:7
	v_perm_b32 v0, v39, v43, s8
	v_alignbit_b32 v1, v34, v40, 16
	ds_write2_b32 v21, v1, v0 offset0:8 offset1:9
	v_perm_b32 v0, v38, v10, s8
	v_perm_b32 v1, v36, v9, s8
	ds_write2_b32 v21, v1, v0 offset0:10 offset1:11
	v_perm_b32 v0, v37, v6, s8
	v_perm_b32 v1, v33, v5, s8
	;; [unrolled: 3-line block ×3, first 2 shown]
	ds_write2_b32 v21, v1, v0 offset0:14 offset1:15
	v_alignbit_b32 v0, v40, v43, 16
	ds_write_b32 v21, v0 offset:64
.LBB0_7:
	s_or_b64 exec, exec, s[4:5]
	v_mad_u64_u32 v[13:14], s[0:1], v25, 20, s[0:1]
	s_load_dwordx4 s[8:11], s[2:3], 0x0
	s_waitcnt lgkmcnt(0)
	s_barrier
	global_load_dwordx4 v[0:3], v[13:14], off
	global_load_dword v20, v[13:14], off offset:16
	v_add_lshl_u32 v21, v30, v25, 2
	ds_read2_b32 v[15:16], v21 offset0:34 offset1:51
	ds_read2_b32 v[17:18], v21 offset0:68 offset1:85
	ds_read2_b32 v[13:14], v21 offset1:17
	s_movk_i32 s0, 0x3aee
	s_mov_b32 s1, 0xbaee
	s_waitcnt lgkmcnt(2)
	v_lshrrev_b32_e32 v30, 16, v15
	v_lshrrev_b32_e32 v41, 16, v16
	s_waitcnt lgkmcnt(1)
	v_lshrrev_b32_e32 v44, 16, v17
	v_lshrrev_b32_e32 v45, 16, v18
	;; [unrolled: 3-line block ×3, first 2 shown]
	v_lshl_add_u32 v19, v25, 2, v29
	s_waitcnt vmcnt(1)
	v_mul_f16_sdwa v47, v14, v0 dst_sel:DWORD dst_unused:UNUSED_PAD src0_sel:DWORD src1_sel:WORD_1
	v_mul_f16_sdwa v48, v30, v1 dst_sel:DWORD dst_unused:UNUSED_PAD src0_sel:DWORD src1_sel:WORD_1
	;; [unrolled: 1-line block ×7, first 2 shown]
	s_waitcnt vmcnt(0)
	v_mul_f16_sdwa v54, v45, v20 dst_sel:DWORD dst_unused:UNUSED_PAD src0_sel:DWORD src1_sel:WORD_1
	v_mul_f16_sdwa v55, v18, v20 dst_sel:DWORD dst_unused:UNUSED_PAD src0_sel:DWORD src1_sel:WORD_1
	;; [unrolled: 1-line block ×3, first 2 shown]
	v_fma_f16 v24, v24, v0, v47
	v_fma_f16 v15, v15, v1, -v48
	v_fma_f16 v30, v30, v1, v49
	v_fma_f16 v16, v16, v2, -v50
	;; [unrolled: 2-line block ×5, first 2 shown]
	v_add_f16_e32 v47, v15, v17
	v_sub_f16_e32 v48, v30, v44
	v_add_f16_e32 v49, v22, v30
	v_add_f16_e32 v30, v30, v44
	v_add_f16_e32 v51, v16, v18
	v_sub_f16_e32 v52, v41, v45
	v_add_f16_e32 v53, v24, v41
	v_add_f16_e32 v41, v41, v45
	;; [unrolled: 1-line block ×3, first 2 shown]
	v_sub_f16_e32 v15, v15, v17
	v_add_f16_e32 v50, v14, v16
	v_sub_f16_e32 v16, v16, v18
	v_fma_f16 v13, v47, -0.5, v13
	v_fma_f16 v22, v30, -0.5, v22
	;; [unrolled: 1-line block ×4, first 2 shown]
	v_add_f16_e32 v17, v46, v17
	v_add_f16_e32 v44, v49, v44
	;; [unrolled: 1-line block ×4, first 2 shown]
	v_fma_f16 v45, v48, s0, v13
	v_fma_f16 v46, v48, s1, v13
	;; [unrolled: 1-line block ×8, first 2 shown]
	v_add_f16_e32 v13, v17, v18
	v_add_f16_e32 v22, v44, v30
	v_sub_f16_e32 v16, v17, v18
	v_sub_f16_e32 v24, v44, v30
	v_mul_f16_e32 v17, 0x3aee, v41
	v_mul_f16_e32 v18, -0.5, v14
	v_mul_f16_e32 v30, 0xbaee, v15
	v_mul_f16_e32 v44, -0.5, v49
	v_fma_f16 v17, v15, 0.5, v17
	v_fma_f16 v18, v49, s0, v18
	v_fma_f16 v49, v41, 0.5, v30
	v_fma_f16 v52, v14, s1, v44
	v_add_f16_e32 v14, v45, v17
	v_add_f16_e32 v15, v46, v18
	;; [unrolled: 1-line block ×4, first 2 shown]
	v_pack_b32_f16 v50, v13, v22
	v_sub_f16_e32 v17, v45, v17
	v_sub_f16_e32 v18, v46, v18
	;; [unrolled: 1-line block ×4, first 2 shown]
	v_pack_b32_f16 v46, v14, v30
	v_pack_b32_f16 v47, v15, v41
	;; [unrolled: 1-line block ×3, first 2 shown]
	ds_write2_b32 v19, v50, v46 offset1:17
	ds_write2_b32 v19, v47, v51 offset0:34 offset1:51
	v_pack_b32_f16 v46, v17, v44
	v_pack_b32_f16 v47, v18, v45
	ds_write2_b32 v19, v46, v47 offset0:68 offset1:85
	s_waitcnt lgkmcnt(0)
	s_barrier
	s_and_saveexec_b64 s[0:1], vcc
	s_cbranch_execz .LBB0_9
; %bb.8:
	global_load_dword v58, v26, s[6:7] offset:408
	s_add_u32 s2, s6, 0x198
	s_addc_u32 s3, s7, 0
	global_load_dword v59, v26, s[2:3] offset:24
	global_load_dword v60, v26, s[2:3] offset:48
	;; [unrolled: 1-line block ×10, first 2 shown]
	ds_read2_b32 v[46:47], v19 offset1:6
	ds_read2_b32 v[48:49], v19 offset0:12 offset1:18
	ds_read2_b32 v[50:51], v19 offset0:24 offset1:30
	;; [unrolled: 1-line block ×3, first 2 shown]
	global_load_dword v69, v26, s[2:3] offset:264
	ds_read2_b32 v[54:55], v19 offset0:48 offset1:54
	ds_read2_b32 v[56:57], v19 offset0:60 offset1:66
	global_load_dword v70, v26, s[2:3] offset:288
	global_load_dword v71, v26, s[2:3] offset:312
	;; [unrolled: 1-line block ×5, first 2 shown]
	s_waitcnt lgkmcnt(5)
	v_lshrrev_b32_e32 v75, 16, v46
	v_lshrrev_b32_e32 v76, 16, v47
	s_waitcnt lgkmcnt(4)
	v_lshrrev_b32_e32 v77, 16, v48
	v_lshrrev_b32_e32 v78, 16, v49
	;; [unrolled: 3-line block ×5, first 2 shown]
	s_waitcnt vmcnt(13)
	v_mul_f16_sdwa v87, v78, v61 dst_sel:DWORD dst_unused:UNUSED_PAD src0_sel:DWORD src1_sel:WORD_1
	v_mul_f16_sdwa v88, v49, v61 dst_sel:DWORD dst_unused:UNUSED_PAD src0_sel:DWORD src1_sel:WORD_1
	s_waitcnt vmcnt(12)
	v_mul_f16_sdwa v89, v79, v62 dst_sel:DWORD dst_unused:UNUSED_PAD src0_sel:DWORD src1_sel:WORD_1
	v_mul_f16_sdwa v90, v50, v62 dst_sel:DWORD dst_unused:UNUSED_PAD src0_sel:DWORD src1_sel:WORD_1
	;; [unrolled: 1-line block ×4, first 2 shown]
	v_fma_f16 v46, v46, v58, -v85
	v_fma_f16 v58, v75, v58, v86
	v_pack_b32_f16 v46, v46, v58
	v_mul_f16_sdwa v58, v76, v59 dst_sel:DWORD dst_unused:UNUSED_PAD src0_sel:DWORD src1_sel:WORD_1
	v_mul_f16_sdwa v75, v47, v59 dst_sel:DWORD dst_unused:UNUSED_PAD src0_sel:DWORD src1_sel:WORD_1
	;; [unrolled: 1-line block ×4, first 2 shown]
	s_waitcnt vmcnt(11)
	v_mul_f16_sdwa v91, v80, v63 dst_sel:DWORD dst_unused:UNUSED_PAD src0_sel:DWORD src1_sel:WORD_1
	v_mul_f16_sdwa v92, v51, v63 dst_sel:DWORD dst_unused:UNUSED_PAD src0_sel:DWORD src1_sel:WORD_1
	s_waitcnt vmcnt(10)
	v_mul_f16_sdwa v93, v81, v64 dst_sel:DWORD dst_unused:UNUSED_PAD src0_sel:DWORD src1_sel:WORD_1
	v_mul_f16_sdwa v94, v52, v64 dst_sel:DWORD dst_unused:UNUSED_PAD src0_sel:DWORD src1_sel:WORD_1
	;; [unrolled: 3-line block ×3, first 2 shown]
	v_fma_f16 v47, v47, v59, -v58
	v_fma_f16 v58, v76, v59, v75
	v_fma_f16 v48, v48, v60, -v85
	v_fma_f16 v59, v77, v60, v86
	;; [unrolled: 2-line block ×7, first 2 shown]
	v_pack_b32_f16 v47, v47, v58
	s_waitcnt vmcnt(8)
	v_mul_f16_sdwa v97, v83, v66 dst_sel:DWORD dst_unused:UNUSED_PAD src0_sel:DWORD src1_sel:WORD_1
	v_mul_f16_sdwa v98, v54, v66 dst_sel:DWORD dst_unused:UNUSED_PAD src0_sel:DWORD src1_sel:WORD_1
	s_waitcnt vmcnt(7)
	v_mul_f16_sdwa v99, v84, v67 dst_sel:DWORD dst_unused:UNUSED_PAD src0_sel:DWORD src1_sel:WORD_1
	v_pack_b32_f16 v48, v48, v59
	v_pack_b32_f16 v49, v49, v60
	;; [unrolled: 1-line block ×6, first 2 shown]
	ds_write2_b32 v19, v46, v47 offset1:6
	ds_write2_b32 v19, v48, v49 offset0:12 offset1:18
	ds_write2_b32 v19, v50, v51 offset0:24 offset1:30
	;; [unrolled: 1-line block ×3, first 2 shown]
	v_mul_f16_sdwa v46, v55, v67 dst_sel:DWORD dst_unused:UNUSED_PAD src0_sel:DWORD src1_sel:WORD_1
	v_fma_f16 v54, v54, v66, -v97
	v_fma_f16 v65, v83, v66, v98
	v_fma_f16 v66, v55, v67, -v99
	v_fma_f16 v46, v84, v67, v46
	v_pack_b32_f16 v54, v54, v65
	v_pack_b32_f16 v46, v66, v46
	ds_write2_b32 v19, v54, v46 offset0:48 offset1:54
	s_waitcnt lgkmcnt(5)
	v_lshrrev_b32_e32 v46, 16, v56
	s_waitcnt vmcnt(6)
	v_mul_f16_sdwa v47, v46, v68 dst_sel:DWORD dst_unused:UNUSED_PAD src0_sel:DWORD src1_sel:WORD_1
	v_mul_f16_sdwa v48, v56, v68 dst_sel:DWORD dst_unused:UNUSED_PAD src0_sel:DWORD src1_sel:WORD_1
	v_fma_f16 v47, v56, v68, -v47
	v_fma_f16 v46, v46, v68, v48
	v_lshrrev_b32_e32 v49, 16, v57
	v_pack_b32_f16 v48, v47, v46
	s_waitcnt vmcnt(5)
	v_mul_f16_sdwa v46, v49, v69 dst_sel:DWORD dst_unused:UNUSED_PAD src0_sel:DWORD src1_sel:WORD_1
	v_fma_f16 v50, v57, v69, -v46
	ds_read2_b32 v[46:47], v19 offset0:72 offset1:78
	v_mul_f16_sdwa v51, v57, v69 dst_sel:DWORD dst_unused:UNUSED_PAD src0_sel:DWORD src1_sel:WORD_1
	v_fma_f16 v49, v49, v69, v51
	v_pack_b32_f16 v49, v50, v49
	ds_write2_b32 v19, v48, v49 offset0:60 offset1:66
	s_waitcnt lgkmcnt(1)
	v_lshrrev_b32_e32 v48, 16, v46
	s_waitcnt vmcnt(4)
	v_mul_f16_sdwa v49, v48, v70 dst_sel:DWORD dst_unused:UNUSED_PAD src0_sel:DWORD src1_sel:WORD_1
	v_fma_f16 v49, v46, v70, -v49
	v_mul_f16_sdwa v46, v46, v70 dst_sel:DWORD dst_unused:UNUSED_PAD src0_sel:DWORD src1_sel:WORD_1
	v_lshrrev_b32_e32 v50, 16, v47
	v_fma_f16 v46, v48, v70, v46
	s_waitcnt vmcnt(3)
	v_mul_f16_sdwa v48, v50, v71 dst_sel:DWORD dst_unused:UNUSED_PAD src0_sel:DWORD src1_sel:WORD_1
	v_pack_b32_f16 v46, v49, v46
	v_fma_f16 v51, v47, v71, -v48
	ds_read2_b32 v[48:49], v19 offset0:84 offset1:90
	v_mul_f16_sdwa v47, v47, v71 dst_sel:DWORD dst_unused:UNUSED_PAD src0_sel:DWORD src1_sel:WORD_1
	v_fma_f16 v47, v50, v71, v47
	v_pack_b32_f16 v47, v51, v47
	ds_write2_b32 v19, v46, v47 offset0:72 offset1:78
	s_waitcnt lgkmcnt(1)
	v_lshrrev_b32_e32 v46, 16, v48
	s_waitcnt vmcnt(2)
	v_mul_f16_sdwa v47, v46, v72 dst_sel:DWORD dst_unused:UNUSED_PAD src0_sel:DWORD src1_sel:WORD_1
	v_fma_f16 v47, v48, v72, -v47
	v_mul_f16_sdwa v48, v48, v72 dst_sel:DWORD dst_unused:UNUSED_PAD src0_sel:DWORD src1_sel:WORD_1
	v_fma_f16 v46, v46, v72, v48
	v_pack_b32_f16 v46, v47, v46
	v_lshrrev_b32_e32 v47, 16, v49
	ds_read_b32 v50, v19 offset:384
	s_waitcnt vmcnt(1)
	v_mul_f16_sdwa v48, v47, v73 dst_sel:DWORD dst_unused:UNUSED_PAD src0_sel:DWORD src1_sel:WORD_1
	v_fma_f16 v48, v49, v73, -v48
	v_mul_f16_sdwa v49, v49, v73 dst_sel:DWORD dst_unused:UNUSED_PAD src0_sel:DWORD src1_sel:WORD_1
	v_fma_f16 v47, v47, v73, v49
	v_pack_b32_f16 v47, v48, v47
	ds_write2_b32 v19, v46, v47 offset0:84 offset1:90
	s_waitcnt lgkmcnt(1)
	v_lshrrev_b32_e32 v46, 16, v50
	s_waitcnt vmcnt(0)
	v_mul_f16_sdwa v47, v46, v74 dst_sel:DWORD dst_unused:UNUSED_PAD src0_sel:DWORD src1_sel:WORD_1
	v_mul_f16_sdwa v48, v50, v74 dst_sel:DWORD dst_unused:UNUSED_PAD src0_sel:DWORD src1_sel:WORD_1
	v_fma_f16 v47, v50, v74, -v47
	v_fma_f16 v46, v46, v74, v48
	v_pack_b32_f16 v46, v47, v46
	ds_write_b32 v19, v46 offset:384
.LBB0_9:
	s_or_b64 exec, exec, s[0:1]
	s_waitcnt lgkmcnt(0)
	s_barrier
	s_and_saveexec_b64 s[0:1], vcc
	s_cbranch_execz .LBB0_11
; %bb.10:
	ds_read2_b32 v[13:14], v19 offset1:6
	ds_read2_b32 v[15:16], v19 offset0:12 offset1:18
	ds_read2_b32 v[17:18], v19 offset0:24 offset1:30
	;; [unrolled: 1-line block ×7, first 2 shown]
	ds_read_b32 v40, v19 offset:384
	s_mov_b32 s2, 0x5040100
	s_waitcnt lgkmcnt(8)
	v_lshrrev_b32_e32 v22, 16, v13
	v_lshrrev_b32_e32 v30, 16, v14
	s_waitcnt lgkmcnt(7)
	v_lshrrev_b32_e32 v41, 16, v15
	v_lshrrev_b32_e32 v24, 16, v16
	;; [unrolled: 3-line block ×8, first 2 shown]
	s_waitcnt lgkmcnt(0)
	v_perm_b32 v43, v40, v47, s2
	v_alignbit_b32 v40, v46, v40, 16
.LBB0_11:
	s_or_b64 exec, exec, s[0:1]
	s_barrier
	s_and_saveexec_b64 s[0:1], vcc
	s_cbranch_execz .LBB0_13
; %bb.12:
	v_add_f16_e32 v68, v40, v30
	v_mul_f16_e32 v69, 0xbbdd, v68
	v_sub_f16_sdwa v46, v14, v43 dst_sel:DWORD dst_unused:UNUSED_PAD src0_sel:DWORD src1_sel:WORD_1
	s_movk_i32 s25, 0x31e1
	v_fma_f16 v47, v46, s25, v69
	v_add_f16_e32 v70, v42, v41
	v_add_f16_e32 v48, v22, v47
	v_mul_f16_e32 v71, 0x3b76, v70
	v_sub_f16_e32 v47, v15, v12
	s_mov_b32 s15, 0xb5c8
	v_fma_f16 v49, v47, s15, v71
	v_add_f16_e32 v72, v35, v24
	v_add_f16_e32 v48, v49, v48
	v_mul_f16_e32 v73, 0xbacd, v72
	v_sub_f16_e32 v49, v16, v11
	s_movk_i32 s21, 0x3836
	v_fma_f16 v50, v49, s21, v73
	v_add_f16_e32 v74, v37, v44
	v_add_f16_e32 v48, v50, v48
	v_mul_f16_e32 v75, 0x39e9, v74
	v_sub_f16_e32 v50, v17, v6
	s_mov_b32 s18, 0xb964
	v_fma_f16 v51, v50, s18, v75
	v_add_f16_e32 v76, v33, v45
	v_add_f16_e32 v48, v51, v48
	v_mul_f16_e32 v77, 0xb8d2, v76
	v_sub_f16_e32 v51, v18, v5
	;; [unrolled: 12-line block ×3, first 2 shown]
	s_movk_i32 s26, 0x3bb2
	v_fma_f16 v54, v53, s26, v81
	v_add_f16_e32 v82, v39, v34
	v_add_f16_e32 v48, v54, v48
	v_mul_f16_e32 v83, 0x2de8, v82
	v_sub_f16_sdwa v54, v40, v43 dst_sel:DWORD dst_unused:UNUSED_PAD src0_sel:WORD_1 src1_sel:DWORD
	s_mov_b32 s23, 0xbbf7
	v_fma_f16 v55, v54, s23, v83
	v_sub_f16_e32 v84, v30, v40
	s_mov_b32 s2, 0xbbdd
	v_add_f16_e32 v48, v55, v48
	v_add_f16_sdwa v55, v43, v14 dst_sel:DWORD dst_unused:UNUSED_PAD src0_sel:WORD_1 src1_sel:DWORD
	v_mul_f16_e32 v85, 0xb1e1, v84
	v_fma_f16 v56, v55, s2, v85
	v_sub_f16_e32 v86, v41, v42
	s_movk_i32 s4, 0x3b76
	v_add_f16_e32 v57, v13, v56
	v_add_f16_e32 v56, v12, v15
	v_mul_f16_e32 v87, 0x35c8, v86
	v_fma_f16 v58, v56, s4, v87
	v_sub_f16_e32 v88, v24, v35
	s_mov_b32 s3, 0xbacd
	v_add_f16_e32 v58, v58, v57
	v_add_f16_e32 v57, v11, v16
	v_mul_f16_e32 v89, 0xb836, v88
	v_fma_f16 v59, v57, s3, v89
	v_sub_f16_e32 v90, v44, v37
	s_movk_i32 s14, 0x39e9
	v_add_f16_e32 v59, v59, v58
	v_add_f16_e32 v58, v6, v17
	v_mul_f16_e32 v91, 0x3964, v90
	v_fma_f16 v60, v58, s14, v91
	v_sub_f16_e32 v92, v45, v33
	s_mov_b32 s5, 0xb8d2
	v_add_f16_e32 v60, v60, v59
	v_add_f16_e32 v59, v5, v18
	v_mul_f16_e32 v93, 0xba62, v92
	v_fma_f16 v61, v59, s5, v93
	v_sub_f16_e32 v94, v31, v38
	v_add_f16_e32 v60, v61, v60
	v_add_f16_e32 v61, v10, v7
	v_mul_f16_e32 v95, 0x3b29, v94
	v_fma_f16 v62, v61, s16, v95
	v_sub_f16_e32 v96, v32, v36
	s_mov_b32 s17, 0xb461
	v_add_f16_e32 v60, v62, v60
	v_add_f16_e32 v62, v9, v8
	v_mul_f16_e32 v97, 0xbbb2, v96
	v_fma_f16 v63, v62, s17, v97
	v_sub_f16_e32 v98, v34, v39
	s_movk_i32 s19, 0x2de8
	v_add_f16_e32 v60, v63, v60
	v_add_f16_sdwa v63, v43, v40 dst_sel:DWORD dst_unused:UNUSED_PAD src0_sel:DWORD src1_sel:WORD_1
	v_mul_f16_e32 v99, 0x3bf7, v98
	v_fma_f16 v64, v63, s19, v99
	v_mul_f16_e32 v100, 0xbacd, v68
	v_add_f16_e32 v60, v64, v60
	v_fma_f16 v64, v46, s21, v100
	v_mul_f16_e32 v101, 0x3722, v70
	s_movk_i32 s34, 0x3bf7
	v_add_f16_e32 v64, v22, v64
	v_fma_f16 v65, v47, s20, v101
	v_mul_f16_e32 v102, 0x2de8, v72
	s_mov_b32 s27, 0xba62
	v_add_f16_e32 v64, v65, v64
	v_fma_f16 v65, v49, s34, v102
	v_mul_f16_e32 v103, 0xb8d2, v74
	s_movk_i32 s28, 0x35c8
	v_add_f16_e32 v64, v65, v64
	v_fma_f16 v65, v50, s27, v103
	v_mul_f16_e32 v104, 0x3b76, v76
	v_add_f16_e32 v64, v65, v64
	v_fma_f16 v65, v51, s28, v104
	v_mul_f16_e32 v105, 0xbbdd, v78
	;; [unrolled: 3-line block ×13, first 2 shown]
	s_mov_b32 s29, 0xbbb2
	v_add_f16_e32 v65, v66, v65
	v_fma_f16 v66, v46, s31, v116
	v_mul_f16_e32 v117, 0xb461, v70
	v_add_f16_e32 v66, v22, v66
	v_fma_f16 v67, v47, s29, v117
	v_mul_f16_e32 v118, 0x3b76, v72
	;; [unrolled: 3-line block ×4, first 2 shown]
	s_movk_i32 s33, 0x3964
	v_add_f16_e32 v66, v67, v66
	v_fma_f16 v67, v51, s23, v120
	v_mul_f16_e32 v121, 0x39e9, v78
	v_add_f16_e32 v66, v67, v66
	v_fma_f16 v67, v52, s33, v121
	v_mul_f16_e32 v122, 0xbbdd, v80
	;; [unrolled: 3-line block ×5, first 2 shown]
	v_add_f16_e32 v67, v13, v67
	v_fma_f16 v126, v56, s17, v125
	v_add_f16_e32 v67, v126, v67
	v_mul_f16_e32 v126, 0xb5c8, v88
	v_fma_f16 v127, v57, s4, v126
	v_add_f16_e32 v67, v127, v67
	v_mul_f16_e32 v127, 0xb836, v90
	;; [unrolled: 3-line block ×7, first 2 shown]
	s_mov_b32 s24, 0xb836
	v_fma_f16 v133, v46, s26, v132
	v_mul_f16_e32 v134, 0xbacd, v70
	v_add_f16_e32 v133, v22, v133
	v_fma_f16 v135, v47, s24, v134
	v_add_f16_e32 v133, v135, v133
	v_mul_f16_e32 v135, 0x39e9, v72
	v_fma_f16 v136, v49, s18, v135
	s_movk_i32 s30, 0x3b29
	v_add_f16_e32 v133, v136, v133
	v_mul_f16_e32 v136, 0x3722, v74
	v_add_f16_e32 v14, v14, v13
	v_fma_f16 v137, v50, s30, v136
	v_add_f16_e32 v14, v15, v14
	v_add_f16_e32 v133, v137, v133
	v_mul_f16_e32 v137, 0xbbdd, v76
	v_add_f16_e32 v14, v16, v14
	v_fma_f16 v138, v51, s25, v137
	v_add_f16_e32 v14, v17, v14
	;; [unrolled: 5-line block ×3, first 2 shown]
	v_add_f16_e32 v133, v139, v133
	v_mul_f16_e32 v139, 0x3b76, v80
	v_add_f16_e32 v7, v8, v7
	v_fma_f16 v140, v53, s28, v139
	v_add_f16_sdwa v7, v40, v7 dst_sel:DWORD dst_unused:UNUSED_PAD src0_sel:WORD_1 src1_sel:DWORD
	v_add_f16_e32 v133, v140, v133
	v_mul_f16_e32 v140, 0xb8d2, v82
	v_add_f16_e32 v7, v43, v7
	v_fma_f16 v141, v54, s31, v140
	v_add_f16_e32 v7, v9, v7
	s_mov_b32 s22, 0xb1e1
	v_add_f16_e32 v133, v141, v133
	v_mul_f16_e32 v141, 0xbbb2, v84
	v_add_f16_e32 v7, v10, v7
	v_fma_f16 v142, v55, s17, v141
	v_mul_f16_e32 v143, 0x3836, v86
	v_add_f16_e32 v5, v5, v7
	v_fma_f16 v7, v46, s22, v69
	v_add_f16_e32 v142, v13, v142
	v_fma_f16 v144, v56, s3, v143
	;; [unrolled: 2-line block ×3, first 2 shown]
	v_add_f16_e32 v142, v144, v142
	v_mul_f16_e32 v144, 0x3964, v88
	v_add_f16_e32 v7, v8, v7
	v_fma_f16 v8, v49, s24, v73
	v_fma_f16 v145, v57, s14, v144
	v_add_f16_e32 v7, v8, v7
	v_fma_f16 v8, v50, s33, v75
	v_add_f16_e32 v142, v145, v142
	v_mul_f16_e32 v145, 0xbb29, v90
	v_add_f16_e32 v7, v8, v7
	v_fma_f16 v8, v51, s27, v77
	v_fma_f16 v146, v58, s16, v145
	v_add_f16_e32 v7, v8, v7
	v_fma_f16 v8, v52, s30, v79
	;; [unrolled: 7-line block ×3, first 2 shown]
	v_add_f16_e32 v142, v147, v142
	v_mul_f16_e32 v147, 0x3bf7, v94
	v_add_f16_e32 v7, v8, v7
	v_fma_f16 v8, v55, s2, -v85
	v_fma_f16 v148, v61, s19, v147
	v_add_f16_e32 v8, v13, v8
	v_fma_f16 v9, v56, s4, -v87
	v_add_f16_e32 v142, v148, v142
	v_mul_f16_e32 v148, 0xb5c8, v96
	v_add_f16_e32 v8, v9, v8
	v_fma_f16 v9, v57, s3, -v89
	v_fma_f16 v149, v62, s4, v148
	v_add_f16_e32 v8, v9, v8
	v_fma_f16 v9, v58, s14, -v91
	;; [unrolled: 7-line block ×3, first 2 shown]
	v_add_f16_e32 v142, v150, v142
	v_mul_f16_e32 v150, 0x2de8, v68
	v_add_f16_e32 v8, v9, v8
	v_fma_f16 v9, v62, s17, -v97
	v_fma_f16 v151, v46, s34, v150
	v_mul_f16_e32 v152, 0xbbdd, v70
	v_add_f16_e32 v8, v9, v8
	v_fma_f16 v9, v63, s19, -v99
	v_add_f16_e32 v151, v22, v151
	v_fma_f16 v153, v47, s25, v152
	v_add_f16_e32 v8, v9, v8
	v_fma_f16 v9, v46, s24, v100
	v_add_f16_e32 v151, v153, v151
	v_mul_f16_e32 v153, 0xb461, v72
	v_add_f16_e32 v9, v22, v9
	v_fma_f16 v10, v47, s30, v101
	v_fma_f16 v154, v49, s29, v153
	v_add_f16_e32 v9, v10, v9
	v_fma_f16 v10, v49, s23, v102
	v_add_f16_e32 v151, v154, v151
	v_mul_f16_e32 v154, 0x3b76, v74
	v_add_f16_e32 v9, v10, v9
	v_fma_f16 v10, v50, s31, v103
	;; [unrolled: 7-line block ×4, first 2 shown]
	v_fma_f16 v157, v52, s21, v156
	v_add_f16_e32 v5, v6, v5
	v_add_f16_e32 v9, v10, v9
	v_fma_f16 v10, v55, s3, -v108
	v_add_f16_e32 v151, v157, v151
	v_mul_f16_e32 v157, 0xb8d2, v80
	v_add_f16_e32 v5, v11, v5
	v_add_f16_e32 v10, v13, v10
	v_fma_f16 v11, v56, s16, -v109
	v_fma_f16 v158, v53, s27, v157
	v_add_f16_e32 v10, v11, v10
	v_fma_f16 v11, v57, s19, -v110
	v_add_f16_e32 v151, v158, v151
	v_mul_f16_e32 v158, 0x39e9, v82
	v_add_f16_e32 v10, v11, v10
	v_fma_f16 v11, v58, s5, -v111
	v_fma_f16 v159, v54, s18, v158
	v_add_f16_e32 v10, v11, v10
	v_fma_f16 v11, v59, s4, -v112
	v_add_f16_e32 v151, v159, v151
	v_mul_f16_e32 v159, 0xbbf7, v84
	v_add_f16_e32 v10, v11, v10
	v_fma_f16 v11, v61, s2, -v113
	v_fma_f16 v160, v55, s19, v159
	v_mul_f16_e32 v161, 0xb1e1, v86
	v_add_f16_e32 v10, v11, v10
	v_fma_f16 v11, v62, s14, -v114
	v_add_f16_e32 v160, v13, v160
	v_fma_f16 v162, v56, s2, v161
	v_add_f16_e32 v10, v11, v10
	v_fma_f16 v11, v63, s17, -v115
	v_add_f16_e32 v160, v162, v160
	v_mul_f16_e32 v162, 0x3bb2, v88
	v_add_f16_e32 v10, v11, v10
	v_fma_f16 v11, v46, s27, v116
	v_fma_f16 v163, v57, s17, v162
	v_add_f16_e32 v5, v12, v5
	v_add_f16_e32 v11, v22, v11
	v_fma_f16 v12, v47, s26, v117
	v_add_f16_e32 v160, v163, v160
	v_mul_f16_e32 v163, 0x35c8, v90
	v_add_f16_e32 v11, v12, v11
	v_fma_f16 v12, v49, s15, v118
	v_fma_f16 v164, v58, s4, v163
	v_add_f16_e32 v11, v12, v11
	v_fma_f16 v12, v50, s24, v119
	v_add_f16_e32 v160, v164, v160
	v_mul_f16_e32 v164, 0xbb29, v92
	v_add_f16_e32 v11, v12, v11
	v_fma_f16 v12, v51, s34, v120
	v_fma_f16 v165, v59, s16, v164
	v_add_f16_e32 v11, v12, v11
	v_fma_f16 v12, v52, s18, v121
	v_add_f16_e32 v160, v165, v160
	v_mul_f16_e32 v165, 0xb836, v94
	v_add_f16_e32 v11, v12, v11
	v_fma_f16 v12, v53, s22, v122
	v_fma_f16 v166, v61, s3, v165
	v_add_f16_e32 v11, v12, v11
	v_fma_f16 v12, v54, s30, v123
	v_add_f16_e32 v160, v166, v160
	v_mul_f16_e32 v166, 0x3a62, v96
	v_add_f16_e32 v11, v12, v11
	v_fma_f16 v12, v55, s5, -v124
	v_fma_f16 v167, v62, s5, v166
	v_add_f16_e32 v12, v13, v12
	v_fma_f16 v14, v56, s17, -v125
	v_add_f16_e32 v160, v167, v160
	v_mul_f16_e32 v167, 0x3964, v98
	v_add_f16_e32 v12, v14, v12
	v_fma_f16 v14, v57, s4, -v126
	v_fma_f16 v168, v63, s14, v167
	v_add_f16_e32 v12, v14, v12
	v_fma_f16 v14, v58, s3, -v127
	v_add_f16_e32 v160, v168, v160
	v_mul_f16_e32 v168, 0x3722, v68
	v_add_f16_e32 v12, v14, v12
	v_fma_f16 v14, v59, s19, -v128
	v_fma_f16 v169, v46, s30, v168
	v_mul_f16_e32 v170, 0xb8d2, v70
	v_add_f16_e32 v12, v14, v12
	v_fma_f16 v14, v61, s14, -v129
	v_add_f16_e32 v169, v22, v169
	v_fma_f16 v171, v47, s31, v170
	v_add_f16_e32 v12, v14, v12
	v_fma_f16 v14, v62, s2, -v130
	v_add_f16_e32 v169, v171, v169
	v_mul_f16_e32 v171, 0xbbdd, v72
	v_add_f16_e32 v12, v14, v12
	v_fma_f16 v14, v63, s16, -v131
	v_fma_f16 v172, v49, s22, v171
	v_add_f16_e32 v12, v14, v12
	v_fma_f16 v14, v46, s29, v132
	v_add_f16_e32 v169, v172, v169
	v_mul_f16_e32 v172, 0xb461, v74
	v_add_f16_e32 v14, v22, v14
	v_fma_f16 v15, v47, s21, v134
	v_fma_f16 v173, v50, s29, v172
	v_add_f16_e32 v14, v15, v14
	v_fma_f16 v15, v49, s33, v135
	v_add_f16_e32 v169, v173, v169
	v_mul_f16_e32 v173, 0x39e9, v76
	v_add_f16_e32 v14, v15, v14
	v_fma_f16 v15, v50, s20, v136
	;; [unrolled: 7-line block ×4, first 2 shown]
	v_fma_f16 v176, v53, s34, v175
	v_add_f16_e32 v14, v15, v14
	v_fma_f16 v15, v55, s17, -v141
	v_add_f16_e32 v169, v176, v169
	v_mul_f16_e32 v176, 0xbacd, v82
	v_add_f16_e32 v15, v13, v15
	v_fma_f16 v16, v56, s3, -v143
	v_fma_f16 v177, v54, s21, v176
	v_add_f16_e32 v15, v16, v15
	v_fma_f16 v16, v57, s14, -v144
	v_add_f16_e32 v169, v177, v169
	v_mul_f16_e32 v177, 0xbb29, v84
	v_add_f16_e32 v15, v16, v15
	v_fma_f16 v16, v58, s16, -v145
	v_fma_f16 v178, v55, s16, v177
	v_mul_f16_e32 v179, 0xba62, v86
	v_add_f16_e32 v15, v16, v15
	v_fma_f16 v16, v59, s2, -v146
	v_add_f16_e32 v178, v13, v178
	v_fma_f16 v180, v56, s5, v179
	v_add_f16_e32 v15, v16, v15
	v_fma_f16 v16, v61, s19, -v147
	v_add_f16_e32 v178, v180, v178
	v_mul_f16_e32 v180, 0x31e1, v88
	v_add_f16_e32 v15, v16, v15
	v_fma_f16 v16, v62, s4, -v148
	v_fma_f16 v181, v57, s2, v180
	v_add_f16_e32 v15, v16, v15
	v_fma_f16 v16, v63, s5, -v149
	v_add_f16_e32 v178, v181, v178
	v_mul_f16_e32 v181, 0x3bb2, v90
	v_add_f16_e32 v15, v16, v15
	v_fma_f16 v16, v46, s23, v150
	v_fma_f16 v182, v58, s17, v181
	v_add_f16_e32 v16, v22, v16
	v_fma_f16 v17, v47, s22, v152
	v_add_f16_e32 v178, v182, v178
	v_mul_f16_e32 v182, 0x3964, v92
	v_add_f16_e32 v16, v17, v16
	v_fma_f16 v17, v49, s26, v153
	v_fma_f16 v183, v59, s14, v182
	v_add_f16_e32 v16, v17, v16
	v_fma_f16 v17, v50, s28, v154
	;; [unrolled: 7-line block ×4, first 2 shown]
	v_add_f16_e32 v178, v185, v178
	v_mul_f16_e32 v185, 0xb836, v98
	v_add_f16_e32 v16, v17, v16
	v_fma_f16 v17, v55, s19, -v159
	v_fma_f16 v186, v63, s3, v185
	v_add_f16_e32 v17, v13, v17
	v_fma_f16 v18, v56, s2, -v161
	v_add_f16_e32 v178, v186, v178
	v_mul_f16_e32 v186, 0x39e9, v68
	v_add_f16_e32 v17, v18, v17
	v_fma_f16 v18, v57, s17, -v162
	v_fma_f16 v187, v46, s33, v186
	v_mul_f16_e32 v188, 0x2de8, v70
	v_add_f16_e32 v17, v18, v17
	v_fma_f16 v18, v58, s4, -v163
	v_add_f16_e32 v187, v22, v187
	v_fma_f16 v189, v47, s34, v188
	v_add_f16_e32 v17, v18, v17
	v_fma_f16 v18, v59, s16, -v164
	v_add_f16_e32 v187, v189, v187
	v_mul_f16_e32 v189, 0xb8d2, v72
	v_add_f16_e32 v17, v18, v17
	v_fma_f16 v18, v61, s3, -v165
	v_fma_f16 v190, v49, s31, v189
	v_add_f16_e32 v17, v18, v17
	v_fma_f16 v18, v62, s5, -v166
	v_add_f16_e32 v187, v190, v187
	v_mul_f16_e32 v190, 0xbbdd, v74
	v_add_f16_e32 v6, v30, v22
	v_add_f16_e32 v17, v18, v17
	v_fma_f16 v18, v63, s14, -v167
	v_fma_f16 v191, v50, s25, v190
	v_add_f16_e32 v6, v41, v6
	v_add_f16_e32 v17, v18, v17
	v_fma_f16 v18, v46, s20, v168
	v_add_f16_e32 v187, v191, v187
	v_mul_f16_e32 v191, 0xbacd, v76
	v_add_f16_e32 v6, v24, v6
	v_add_f16_e32 v18, v22, v18
	v_fma_f16 v24, v47, s27, v170
	v_fma_f16 v192, v51, s24, v191
	v_add_f16_e32 v18, v24, v18
	v_fma_f16 v24, v49, s25, v171
	v_add_f16_e32 v187, v192, v187
	v_mul_f16_e32 v192, 0xb461, v78
	v_add_f16_e32 v18, v24, v18
	v_fma_f16 v24, v50, s26, v172
	v_fma_f16 v193, v52, s29, v192
	v_add_f16_e32 v18, v24, v18
	v_fma_f16 v24, v51, s33, v173
	v_add_f16_e32 v187, v193, v187
	v_mul_f16_e32 v193, 0x3722, v80
	v_add_f16_e32 v18, v24, v18
	v_fma_f16 v24, v52, s15, v174
	v_fma_f16 v194, v53, s20, v193
	v_add_f16_e32 v18, v24, v18
	v_fma_f16 v24, v53, s23, v175
	v_add_f16_e32 v187, v194, v187
	v_mul_f16_e32 v194, 0x3b76, v82
	v_add_f16_e32 v18, v24, v18
	v_fma_f16 v24, v54, s24, v176
	v_fma_f16 v195, v54, s15, v194
	v_add_f16_e32 v18, v24, v18
	v_fma_f16 v24, v55, s16, -v177
	v_add_f16_e32 v187, v195, v187
	v_mul_f16_e32 v195, 0xb964, v84
	v_add_f16_e32 v24, v13, v24
	v_fma_f16 v30, v56, s5, -v179
	v_fma_f16 v196, v55, s14, v195
	v_mul_f16_e32 v197, 0xbbf7, v86
	v_add_f16_e32 v24, v30, v24
	v_fma_f16 v30, v57, s2, -v180
	v_add_f16_e32 v196, v13, v196
	v_fma_f16 v198, v56, s19, v197
	v_add_f16_e32 v24, v30, v24
	v_fma_f16 v30, v58, s17, -v181
	v_add_f16_e32 v196, v198, v196
	v_mul_f16_e32 v198, 0xba62, v88
	v_add_f16_e32 v24, v30, v24
	v_fma_f16 v30, v59, s14, -v182
	v_fma_f16 v199, v57, s5, v198
	v_add_f16_e32 v24, v30, v24
	v_fma_f16 v30, v61, s4, -v183
	v_add_f16_e32 v196, v199, v196
	v_mul_f16_e32 v199, 0xb1e1, v90
	v_add_f16_e32 v24, v30, v24
	v_fma_f16 v30, v62, s19, -v184
	v_fma_f16 v200, v58, s2, v199
	v_add_f16_e32 v6, v44, v6
	v_add_f16_e32 v24, v30, v24
	v_fma_f16 v30, v63, s3, -v185
	v_add_f16_e32 v196, v200, v196
	v_mul_f16_e32 v200, 0x3836, v92
	v_add_f16_e32 v6, v45, v6
	v_add_f16_e32 v24, v30, v24
	v_fma_f16 v30, v46, s18, v186
	v_fma_f16 v201, v59, s3, v200
	v_add_f16_e32 v6, v31, v6
	v_add_f16_e32 v30, v22, v30
	v_fma_f16 v31, v47, s23, v188
	v_add_f16_e32 v196, v201, v196
	v_mul_f16_e32 v201, 0x3bb2, v94
	v_add_f16_e32 v30, v31, v30
	v_fma_f16 v31, v49, s27, v189
	v_fma_f16 v202, v61, s17, v201
	v_add_f16_e32 v30, v31, v30
	v_fma_f16 v31, v50, s22, v190
	v_add_f16_e32 v196, v202, v196
	v_mul_f16_e32 v202, 0x3b29, v96
	v_add_f16_e32 v30, v31, v30
	v_fma_f16 v31, v51, s21, v191
	v_fma_f16 v203, v62, s16, v202
	;; [unrolled: 7-line block ×3, first 2 shown]
	v_mul_f16_e32 v68, 0x3b76, v68
	v_add_f16_e32 v30, v31, v30
	v_fma_f16 v31, v54, s28, v194
	v_add_f16_e32 v196, v204, v196
	v_fma_f16 v204, v46, s28, v68
	v_mul_f16_e32 v70, 0x39e9, v70
	v_add_f16_e32 v30, v31, v30
	v_fma_f16 v31, v55, s14, -v195
	v_add_f16_e32 v204, v22, v204
	v_fma_f16 v205, v47, s33, v70
	v_mul_f16_e32 v72, 0x3722, v72
	v_add_f16_e32 v6, v32, v6
	v_add_f16_e32 v31, v13, v31
	v_fma_f16 v32, v56, s19, -v197
	v_add_f16_e32 v204, v205, v204
	v_fma_f16 v205, v49, s30, v72
	v_mul_f16_e32 v74, 0x2de8, v74
	v_add_f16_e32 v31, v32, v31
	v_fma_f16 v32, v57, s5, -v198
	v_add_f16_e32 v204, v205, v204
	v_fma_f16 v205, v50, s34, v74
	v_mul_f16_e32 v76, 0xb461, v76
	;; [unrolled: 5-line block ×7, first 2 shown]
	v_add_f16_e32 v6, v34, v6
	v_add_f16_e32 v31, v32, v31
	v_fma_f16 v32, v46, s15, v68
	v_add_f16_e32 v205, v13, v205
	v_fma_f16 v206, v56, s14, v86
	v_mul_f16_e32 v88, 0xbb29, v88
	v_add_f16_e32 v6, v39, v6
	v_add_f16_e32 v22, v22, v32
	v_fma_f16 v32, v47, s18, v70
	v_add_f16_e32 v205, v206, v205
	v_fma_f16 v206, v57, s16, v88
	v_mul_f16_e32 v90, 0xbbf7, v90
	v_add_f16_e32 v6, v36, v6
	v_add_f16_e32 v22, v32, v22
	v_fma_f16 v32, v49, s20, v72
	v_add_f16_e32 v205, v206, v205
	v_fma_f16 v206, v58, s19, v90
	v_mul_f16_e32 v92, 0xbbb2, v92
	v_add_f16_e32 v6, v38, v6
	v_add_f16_e32 v22, v32, v22
	v_fma_f16 v32, v50, s23, v74
	v_add_f16_e32 v205, v206, v205
	v_fma_f16 v206, v59, s17, v92
	v_mul_f16_e32 v94, 0xba62, v94
	v_add_f16_e32 v6, v33, v6
	v_add_f16_e32 v22, v32, v22
	v_fma_f16 v32, v51, s29, v76
	v_add_f16_e32 v205, v206, v205
	v_fma_f16 v206, v61, s5, v94
	v_mul_f16_e32 v96, 0xb836, v96
	v_add_f16_e32 v6, v37, v6
	v_add_f16_e32 v22, v32, v22
	v_fma_f16 v32, v52, s27, v78
	v_add_f16_e32 v205, v206, v205
	v_fma_f16 v206, v62, s3, v96
	v_mul_f16_e32 v98, 0xb1e1, v98
	v_add_f16_e32 v6, v35, v6
	v_add_f16_e32 v22, v32, v22
	v_fma_f16 v32, v53, s24, v80
	v_add_f16_e32 v205, v206, v205
	v_fma_f16 v206, v63, s2, v98
	v_add_f16_e32 v6, v42, v6
	v_add_f16_e32 v22, v32, v22
	v_fma_f16 v32, v54, s22, v82
	v_add_f16_e32 v205, v206, v205
	v_add_f16_sdwa v5, v43, v5 dst_sel:DWORD dst_unused:UNUSED_PAD src0_sel:WORD_1 src1_sel:DWORD
	v_add_f16_e32 v6, v40, v6
	v_add_f16_e32 v22, v32, v22
	v_fma_f16 v32, v55, s4, -v84
	v_add_f16_e32 v13, v13, v32
	v_fma_f16 v32, v56, s14, -v86
	v_lshl_add_u32 v23, v23, 2, v29
	v_pack_b32_f16 v29, v205, v204
	v_pack_b32_f16 v5, v5, v6
	v_add_f16_e32 v13, v32, v13
	v_fma_f16 v32, v57, s16, -v88
	ds_write2_b32 v23, v5, v29 offset1:1
	v_pack_b32_f16 v5, v178, v169
	v_pack_b32_f16 v6, v196, v187
	v_add_f16_e32 v13, v32, v13
	v_fma_f16 v32, v58, s19, -v90
	ds_write2_b32 v23, v6, v5 offset0:2 offset1:3
	v_pack_b32_f16 v5, v142, v133
	v_pack_b32_f16 v6, v160, v151
	v_add_f16_e32 v13, v32, v13
	v_fma_f16 v32, v59, s17, -v92
	ds_write2_b32 v23, v6, v5 offset0:4 offset1:5
	;; [unrolled: 5-line block ×5, first 2 shown]
	v_pack_b32_f16 v5, v17, v16
	v_pack_b32_f16 v6, v15, v14
	v_add_f16_e32 v13, v32, v13
	ds_write2_b32 v23, v6, v5 offset0:12 offset1:13
	v_pack_b32_f16 v5, v31, v30
	v_pack_b32_f16 v6, v24, v18
	ds_write2_b32 v23, v6, v5 offset0:14 offset1:15
	v_pack_b32_f16 v5, v13, v22
	ds_write_b32 v23, v5 offset:64
.LBB0_13:
	s_or_b64 exec, exec, s[0:1]
	s_waitcnt lgkmcnt(0)
	s_barrier
	ds_read2_b32 v[5:6], v21 offset1:17
	ds_read2_b32 v[7:8], v21 offset0:34 offset1:51
	ds_read2_b32 v[9:10], v21 offset0:68 offset1:85
	s_mov_b32 s0, 0xbaee
	s_movk_i32 s1, 0x3aee
	s_waitcnt lgkmcnt(2)
	v_lshrrev_b32_e32 v12, 16, v6
	v_mul_f16_sdwa v17, v0, v12 dst_sel:DWORD dst_unused:UNUSED_PAD src0_sel:WORD_1 src1_sel:DWORD
	s_waitcnt lgkmcnt(1)
	v_lshrrev_b32_e32 v13, 16, v7
	v_fma_f16 v17, v0, v6, v17
	v_mul_f16_sdwa v6, v0, v6 dst_sel:DWORD dst_unused:UNUSED_PAD src0_sel:WORD_1 src1_sel:DWORD
	v_fma_f16 v0, v0, v12, -v6
	v_mul_f16_sdwa v6, v1, v13 dst_sel:DWORD dst_unused:UNUSED_PAD src0_sel:WORD_1 src1_sel:DWORD
	v_lshrrev_b32_e32 v14, 16, v8
	v_fma_f16 v6, v1, v7, v6
	v_mul_f16_sdwa v7, v1, v7 dst_sel:DWORD dst_unused:UNUSED_PAD src0_sel:WORD_1 src1_sel:DWORD
	v_fma_f16 v1, v1, v13, -v7
	v_mul_f16_sdwa v7, v2, v14 dst_sel:DWORD dst_unused:UNUSED_PAD src0_sel:WORD_1 src1_sel:DWORD
	s_waitcnt lgkmcnt(0)
	v_lshrrev_b32_e32 v15, 16, v9
	v_fma_f16 v7, v2, v8, v7
	v_mul_f16_sdwa v8, v2, v8 dst_sel:DWORD dst_unused:UNUSED_PAD src0_sel:WORD_1 src1_sel:DWORD
	v_fma_f16 v2, v2, v14, -v8
	v_mul_f16_sdwa v8, v3, v15 dst_sel:DWORD dst_unused:UNUSED_PAD src0_sel:WORD_1 src1_sel:DWORD
	v_fma_f16 v8, v3, v9, v8
	v_mul_f16_sdwa v9, v3, v9 dst_sel:DWORD dst_unused:UNUSED_PAD src0_sel:WORD_1 src1_sel:DWORD
	v_lshrrev_b32_e32 v16, 16, v10
	v_fma_f16 v3, v3, v15, -v9
	v_add_f16_e32 v13, v6, v8
	v_lshrrev_b32_e32 v11, 16, v5
	v_mul_f16_sdwa v9, v20, v16 dst_sel:DWORD dst_unused:UNUSED_PAD src0_sel:WORD_1 src1_sel:DWORD
	v_add_f16_e32 v12, v5, v6
	v_fma_f16 v5, v13, -0.5, v5
	v_sub_f16_e32 v13, v1, v3
	v_fma_f16 v9, v20, v10, v9
	v_mul_f16_sdwa v10, v20, v10 dst_sel:DWORD dst_unused:UNUSED_PAD src0_sel:WORD_1 src1_sel:DWORD
	v_fma_f16 v14, v13, s0, v5
	v_fma_f16 v5, v13, s1, v5
	v_add_f16_e32 v13, v11, v1
	v_fma_f16 v10, v20, v16, -v10
	v_add_f16_e32 v12, v12, v8
	v_add_f16_e32 v13, v13, v3
	;; [unrolled: 1-line block ×3, first 2 shown]
	v_sub_f16_e32 v3, v6, v8
	v_add_f16_e32 v8, v7, v9
	v_fma_f16 v1, v1, -0.5, v11
	v_fma_f16 v8, v8, -0.5, v17
	v_sub_f16_e32 v11, v2, v10
	v_fma_f16 v15, v11, s0, v8
	v_fma_f16 v8, v11, s1, v8
	v_add_f16_e32 v11, v0, v2
	v_add_f16_e32 v2, v2, v10
	v_fma_f16 v0, v2, -0.5, v0
	v_sub_f16_e32 v2, v7, v9
	v_fma_f16 v6, v3, s1, v1
	v_fma_f16 v1, v3, s0, v1
	v_add_f16_e32 v3, v17, v7
	v_fma_f16 v7, v2, s1, v0
	v_add_f16_e32 v3, v3, v9
	v_fma_f16 v0, v2, s0, v0
	v_mul_f16_e32 v9, 0xbaee, v7
	v_mul_f16_e32 v7, 0.5, v7
	v_add_f16_e32 v11, v11, v10
	v_fma_f16 v9, v15, 0.5, v9
	v_mul_f16_e32 v16, 0xbaee, v0
	v_fma_f16 v7, v15, s1, v7
	v_mul_f16_e32 v0, -0.5, v0
	v_add_f16_e32 v2, v12, v3
	v_add_f16_e32 v10, v14, v9
	v_fma_f16 v16, v8, -0.5, v16
	v_add_f16_e32 v18, v13, v11
	v_add_f16_e32 v15, v6, v7
	v_fma_f16 v0, v8, s1, v0
	v_add_f16_e32 v17, v5, v16
	v_add_f16_e32 v8, v1, v0
	v_sub_f16_e32 v3, v12, v3
	v_sub_f16_e32 v11, v13, v11
	;; [unrolled: 1-line block ×3, first 2 shown]
	v_pack_b32_f16 v1, v2, v18
	v_pack_b32_f16 v2, v10, v15
	v_sub_f16_e32 v9, v14, v9
	v_sub_f16_e32 v5, v5, v16
	;; [unrolled: 1-line block ×3, first 2 shown]
	ds_write2_b32 v19, v1, v2 offset1:17
	v_pack_b32_f16 v1, v17, v8
	v_pack_b32_f16 v2, v3, v11
	ds_write2_b32 v19, v1, v2 offset0:34 offset1:51
	v_pack_b32_f16 v1, v9, v6
	v_pack_b32_f16 v0, v5, v0
	ds_write2_b32 v19, v1, v0 offset0:68 offset1:85
	s_waitcnt lgkmcnt(0)
	s_barrier
	s_and_b64 exec, exec, vcc
	s_cbranch_execz .LBB0_15
; %bb.14:
	global_load_dword v8, v26, s[6:7]
	v_mad_u64_u32 v[5:6], s[0:1], s8, v25, 0
	v_mad_u64_u32 v[1:2], s[0:1], s10, v4, 0
	ds_read_b32 v9, v19
	v_mov_b32_e32 v3, v6
	v_mad_u64_u32 v[6:7], s[0:1], s11, v4, v[2:3]
	v_mad_u64_u32 v[3:4], s[0:1], s9, v25, v[3:4]
	s_waitcnt lgkmcnt(0)
	v_lshrrev_b32_e32 v4, 16, v9
	v_mov_b32_e32 v2, v6
	v_mov_b32_e32 v6, v3
	s_mov_b32 s14, 0x14141414
	s_mov_b32 s15, 0x3f841414
	v_lshlrev_b64 v[1:2], 2, v[1:2]
	v_mov_b32_e32 v10, s13
	v_lshlrev_b64 v[5:6], 2, v[5:6]
	v_add_co_u32_e32 v1, vcc, s12, v1
	v_addc_co_u32_e32 v2, vcc, v10, v2, vcc
	s_movk_i32 s16, 0x1ff
	v_add_co_u32_e32 v5, vcc, v1, v5
	v_addc_co_u32_e32 v6, vcc, v2, v6, vcc
	s_movk_i32 s10, 0xffe
	v_mov_b32_e32 v0, 0x7c00
	s_movk_i32 s18, 0x40f
	s_mov_b32 s17, 0x8000
	s_mul_hi_u32 s12, s8, 24
	s_mul_i32 s11, s8, 24
	s_mul_hi_u32 s19, s8, 48
	s_mul_i32 s13, s8, 48
	s_waitcnt vmcnt(0)
	v_mul_f16_sdwa v3, v4, v8 dst_sel:DWORD dst_unused:UNUSED_PAD src0_sel:DWORD src1_sel:WORD_1
	v_fma_f16 v3, v9, v8, v3
	v_mul_f16_sdwa v7, v9, v8 dst_sel:DWORD dst_unused:UNUSED_PAD src0_sel:DWORD src1_sel:WORD_1
	v_cvt_f32_f16_e32 v3, v3
	v_fma_f16 v4, v8, v4, -v7
	v_cvt_f32_f16_e32 v7, v4
	v_cvt_f64_f32_e32 v[3:4], v3
	v_cvt_f64_f32_e32 v[7:8], v7
	v_mul_f64 v[3:4], v[3:4], s[14:15]
	v_mul_f64 v[7:8], v[7:8], s[14:15]
	v_and_or_b32 v3, v4, s16, v3
	v_cmp_ne_u32_e32 vcc, 0, v3
	v_and_or_b32 v7, v8, s16, v7
	v_lshrrev_b32_e32 v9, 8, v4
	v_bfe_u32 v10, v4, 20, 11
	v_cndmask_b32_e64 v3, 0, 1, vcc
	v_cmp_ne_u32_e32 vcc, 0, v7
	v_lshrrev_b32_e32 v11, 8, v8
	v_bfe_u32 v12, v8, 20, 11
	v_sub_u32_e32 v13, 0x3f1, v10
	v_cndmask_b32_e64 v7, 0, 1, vcc
	v_and_or_b32 v3, v9, s10, v3
	v_sub_u32_e32 v14, 0x3f1, v12
	v_med3_i32 v9, v13, 0, 13
	v_and_or_b32 v7, v11, s10, v7
	v_or_b32_e32 v13, 0x1000, v3
	v_add_u32_e32 v10, 0xfffffc10, v10
	v_med3_i32 v11, v14, 0, 13
	v_cmp_ne_u32_e32 vcc, 0, v3
	v_or_b32_e32 v15, 0x1000, v7
	v_lshrrev_b32_e32 v17, v9, v13
	v_add_u32_e32 v12, 0xfffffc10, v12
	v_lshl_or_b32 v14, v10, 12, v3
	v_cndmask_b32_e64 v3, 0, 1, vcc
	v_cmp_ne_u32_e32 vcc, 0, v7
	v_lshrrev_b32_e32 v18, v11, v15
	v_lshlrev_b32_e32 v9, v9, v17
	v_lshl_or_b32 v16, v12, 12, v7
	v_cndmask_b32_e64 v7, 0, 1, vcc
	v_lshlrev_b32_e32 v11, v11, v18
	v_cmp_ne_u32_e32 vcc, v9, v13
	v_cndmask_b32_e64 v9, 0, 1, vcc
	v_cmp_ne_u32_e32 vcc, v11, v15
	v_cndmask_b32_e64 v11, 0, 1, vcc
	v_or_b32_e32 v9, v17, v9
	v_cmp_gt_i32_e32 vcc, 1, v10
	v_cndmask_b32_e32 v9, v14, v9, vcc
	v_or_b32_e32 v11, v18, v11
	v_cmp_gt_i32_e32 vcc, 1, v12
	v_and_b32_e32 v13, 7, v9
	v_cndmask_b32_e32 v11, v16, v11, vcc
	v_cmp_lt_i32_e32 vcc, 5, v13
	v_cmp_eq_u32_e64 s[0:1], 3, v13
	v_lshrrev_b32_e32 v9, 2, v9
	v_and_b32_e32 v14, 7, v11
	s_or_b64 vcc, s[0:1], vcc
	v_cmp_lt_i32_e64 s[2:3], 5, v14
	v_cmp_eq_u32_e64 s[4:5], 3, v14
	v_addc_co_u32_e32 v9, vcc, 0, v9, vcc
	v_lshrrev_b32_e32 v11, 2, v11
	s_or_b64 vcc, s[4:5], s[2:3]
	v_addc_co_u32_e32 v11, vcc, 0, v11, vcc
	v_cmp_gt_i32_e32 vcc, 31, v10
	v_cndmask_b32_e32 v9, v0, v9, vcc
	v_cmp_gt_i32_e32 vcc, 31, v12
	v_lshl_or_b32 v3, v3, 9, v0
	v_cndmask_b32_e32 v11, v0, v11, vcc
	v_cmp_eq_u32_e32 vcc, s18, v10
	v_lshrrev_b32_e32 v4, 16, v4
	v_lshl_or_b32 v7, v7, 9, v0
	v_cndmask_b32_e32 v3, v9, v3, vcc
	v_cmp_eq_u32_e32 vcc, s18, v12
	v_lshrrev_b32_e32 v8, 16, v8
	v_cndmask_b32_e32 v7, v11, v7, vcc
	v_and_or_b32 v3, v4, s17, v3
	v_and_or_b32 v4, v8, s17, v7
	v_and_b32_e32 v3, 0xffff, v3
	v_lshl_or_b32 v3, v4, 16, v3
	global_store_dword v[5:6], v3, off
	global_load_dword v7, v26, s[6:7] offset:24
	ds_read2_b32 v[3:4], v19 offset0:6 offset1:12
	s_mul_i32 s0, s9, 24
	s_add_i32 s12, s12, s0
	v_add_co_u32_e32 v5, vcc, s11, v5
	s_waitcnt lgkmcnt(0)
	v_lshrrev_b32_e32 v8, 16, v3
	s_waitcnt vmcnt(0)
	v_mul_f16_sdwa v9, v8, v7 dst_sel:DWORD dst_unused:UNUSED_PAD src0_sel:DWORD src1_sel:WORD_1
	v_fma_f16 v9, v3, v7, v9
	v_mul_f16_sdwa v3, v3, v7 dst_sel:DWORD dst_unused:UNUSED_PAD src0_sel:DWORD src1_sel:WORD_1
	v_cvt_f32_f16_e32 v9, v9
	v_fma_f16 v3, v7, v8, -v3
	v_cvt_f32_f16_e32 v3, v3
	v_cvt_f64_f32_e32 v[7:8], v9
	v_cvt_f64_f32_e32 v[9:10], v3
	v_mov_b32_e32 v3, s12
	v_mul_f64 v[7:8], v[7:8], s[14:15]
	v_addc_co_u32_e32 v6, vcc, v6, v3, vcc
	v_mul_f64 v[9:10], v[9:10], s[14:15]
	v_and_or_b32 v3, v8, s16, v7
	v_cmp_ne_u32_e32 vcc, 0, v3
	v_lshrrev_b32_e32 v7, 8, v8
	v_and_or_b32 v9, v10, s16, v9
	v_bfe_u32 v11, v8, 20, 11
	v_cndmask_b32_e64 v3, 0, 1, vcc
	v_cmp_ne_u32_e32 vcc, 0, v9
	v_lshrrev_b32_e32 v12, 8, v10
	v_bfe_u32 v13, v10, 20, 11
	v_sub_u32_e32 v14, 0x3f1, v11
	v_cndmask_b32_e64 v9, 0, 1, vcc
	v_and_or_b32 v3, v7, s10, v3
	v_sub_u32_e32 v15, 0x3f1, v13
	v_med3_i32 v7, v14, 0, 13
	v_and_or_b32 v9, v12, s10, v9
	v_or_b32_e32 v14, 0x1000, v3
	v_add_u32_e32 v11, 0xfffffc10, v11
	v_med3_i32 v12, v15, 0, 13
	v_cmp_ne_u32_e32 vcc, 0, v3
	v_or_b32_e32 v16, 0x1000, v9
	v_lshrrev_b32_e32 v18, v7, v14
	v_add_u32_e32 v13, 0xfffffc10, v13
	v_lshl_or_b32 v15, v11, 12, v3
	v_cndmask_b32_e64 v3, 0, 1, vcc
	v_cmp_ne_u32_e32 vcc, 0, v9
	v_lshrrev_b32_e32 v20, v12, v16
	v_lshlrev_b32_e32 v7, v7, v18
	v_lshl_or_b32 v17, v13, 12, v9
	v_cndmask_b32_e64 v9, 0, 1, vcc
	v_lshlrev_b32_e32 v12, v12, v20
	v_cmp_ne_u32_e32 vcc, v7, v14
	v_cndmask_b32_e64 v7, 0, 1, vcc
	v_cmp_ne_u32_e32 vcc, v12, v16
	v_cndmask_b32_e64 v12, 0, 1, vcc
	v_or_b32_e32 v7, v18, v7
	v_cmp_gt_i32_e32 vcc, 1, v11
	v_cndmask_b32_e32 v7, v15, v7, vcc
	v_or_b32_e32 v12, v20, v12
	v_cmp_gt_i32_e32 vcc, 1, v13
	v_and_b32_e32 v14, 7, v7
	v_cndmask_b32_e32 v12, v17, v12, vcc
	v_cmp_lt_i32_e32 vcc, 5, v14
	v_cmp_eq_u32_e64 s[0:1], 3, v14
	v_lshrrev_b32_e32 v7, 2, v7
	v_and_b32_e32 v15, 7, v12
	s_or_b64 vcc, s[0:1], vcc
	v_cmp_lt_i32_e64 s[2:3], 5, v15
	v_cmp_eq_u32_e64 s[4:5], 3, v15
	v_addc_co_u32_e32 v7, vcc, 0, v7, vcc
	v_lshrrev_b32_e32 v12, 2, v12
	s_or_b64 vcc, s[4:5], s[2:3]
	v_addc_co_u32_e32 v12, vcc, 0, v12, vcc
	v_cmp_gt_i32_e32 vcc, 31, v11
	v_cndmask_b32_e32 v7, v0, v7, vcc
	v_cmp_gt_i32_e32 vcc, 31, v13
	v_lshl_or_b32 v3, v3, 9, v0
	v_cndmask_b32_e32 v12, v0, v12, vcc
	v_cmp_eq_u32_e32 vcc, s18, v11
	v_lshrrev_b32_e32 v8, 16, v8
	v_lshl_or_b32 v9, v9, 9, v0
	v_cndmask_b32_e32 v3, v7, v3, vcc
	v_cmp_eq_u32_e32 vcc, s18, v13
	v_lshrrev_b32_e32 v10, 16, v10
	v_cndmask_b32_e32 v7, v12, v9, vcc
	v_and_or_b32 v3, v8, s17, v3
	v_and_or_b32 v7, v10, s17, v7
	v_and_b32_e32 v3, 0xffff, v3
	v_lshl_or_b32 v3, v7, 16, v3
	global_store_dword v[5:6], v3, off
	global_load_dword v3, v26, s[6:7] offset:48
	v_lshrrev_b32_e32 v7, 16, v4
	v_mov_b32_e32 v9, s12
	v_add_co_u32_e32 v5, vcc, s11, v5
	v_addc_co_u32_e32 v6, vcc, v6, v9, vcc
	s_waitcnt vmcnt(0)
	v_mul_f16_sdwa v8, v7, v3 dst_sel:DWORD dst_unused:UNUSED_PAD src0_sel:DWORD src1_sel:WORD_1
	v_fma_f16 v8, v4, v3, v8
	v_mul_f16_sdwa v4, v4, v3 dst_sel:DWORD dst_unused:UNUSED_PAD src0_sel:DWORD src1_sel:WORD_1
	v_cvt_f32_f16_e32 v8, v8
	v_fma_f16 v3, v3, v7, -v4
	v_cvt_f32_f16_e32 v7, v3
	v_cvt_f64_f32_e32 v[3:4], v8
	v_cvt_f64_f32_e32 v[7:8], v7
	v_mul_f64 v[3:4], v[3:4], s[14:15]
	v_mul_f64 v[7:8], v[7:8], s[14:15]
	v_and_or_b32 v3, v4, s16, v3
	v_cmp_ne_u32_e32 vcc, 0, v3
	v_and_or_b32 v7, v8, s16, v7
	v_lshrrev_b32_e32 v9, 8, v4
	v_bfe_u32 v10, v4, 20, 11
	v_cndmask_b32_e64 v3, 0, 1, vcc
	v_cmp_ne_u32_e32 vcc, 0, v7
	v_lshrrev_b32_e32 v11, 8, v8
	v_bfe_u32 v12, v8, 20, 11
	v_sub_u32_e32 v13, 0x3f1, v10
	v_cndmask_b32_e64 v7, 0, 1, vcc
	v_and_or_b32 v3, v9, s10, v3
	v_sub_u32_e32 v14, 0x3f1, v12
	v_med3_i32 v9, v13, 0, 13
	v_and_or_b32 v7, v11, s10, v7
	v_or_b32_e32 v13, 0x1000, v3
	v_add_u32_e32 v10, 0xfffffc10, v10
	v_med3_i32 v11, v14, 0, 13
	v_cmp_ne_u32_e32 vcc, 0, v3
	v_or_b32_e32 v15, 0x1000, v7
	v_lshrrev_b32_e32 v17, v9, v13
	v_add_u32_e32 v12, 0xfffffc10, v12
	v_lshl_or_b32 v14, v10, 12, v3
	v_cndmask_b32_e64 v3, 0, 1, vcc
	v_cmp_ne_u32_e32 vcc, 0, v7
	v_lshrrev_b32_e32 v18, v11, v15
	v_lshlrev_b32_e32 v9, v9, v17
	v_lshl_or_b32 v16, v12, 12, v7
	v_cndmask_b32_e64 v7, 0, 1, vcc
	v_lshlrev_b32_e32 v11, v11, v18
	v_cmp_ne_u32_e32 vcc, v9, v13
	v_cndmask_b32_e64 v9, 0, 1, vcc
	v_cmp_ne_u32_e32 vcc, v11, v15
	v_cndmask_b32_e64 v11, 0, 1, vcc
	v_or_b32_e32 v9, v17, v9
	v_cmp_gt_i32_e32 vcc, 1, v10
	v_cndmask_b32_e32 v9, v14, v9, vcc
	v_or_b32_e32 v11, v18, v11
	v_cmp_gt_i32_e32 vcc, 1, v12
	v_and_b32_e32 v13, 7, v9
	v_cndmask_b32_e32 v11, v16, v11, vcc
	v_cmp_lt_i32_e32 vcc, 5, v13
	v_cmp_eq_u32_e64 s[0:1], 3, v13
	v_lshrrev_b32_e32 v9, 2, v9
	v_and_b32_e32 v14, 7, v11
	s_or_b64 vcc, s[0:1], vcc
	v_cmp_lt_i32_e64 s[2:3], 5, v14
	v_cmp_eq_u32_e64 s[4:5], 3, v14
	v_addc_co_u32_e32 v9, vcc, 0, v9, vcc
	v_lshrrev_b32_e32 v11, 2, v11
	s_or_b64 vcc, s[4:5], s[2:3]
	v_addc_co_u32_e32 v11, vcc, 0, v11, vcc
	v_cmp_gt_i32_e32 vcc, 31, v10
	v_cndmask_b32_e32 v9, v0, v9, vcc
	v_cmp_gt_i32_e32 vcc, 31, v12
	v_lshl_or_b32 v3, v3, 9, v0
	v_cndmask_b32_e32 v11, v0, v11, vcc
	v_cmp_eq_u32_e32 vcc, s18, v10
	v_lshrrev_b32_e32 v4, 16, v4
	v_lshl_or_b32 v7, v7, 9, v0
	v_cndmask_b32_e32 v3, v9, v3, vcc
	v_cmp_eq_u32_e32 vcc, s18, v12
	v_lshrrev_b32_e32 v8, 16, v8
	v_cndmask_b32_e32 v7, v11, v7, vcc
	v_and_or_b32 v3, v4, s17, v3
	v_and_or_b32 v4, v8, s17, v7
	v_and_b32_e32 v3, 0xffff, v3
	v_lshl_or_b32 v3, v4, 16, v3
	global_store_dword v[5:6], v3, off
	global_load_dword v7, v26, s[6:7] offset:72
	ds_read2_b32 v[3:4], v19 offset0:18 offset1:24
	v_add_co_u32_e32 v5, vcc, s11, v5
	s_waitcnt lgkmcnt(0)
	v_lshrrev_b32_e32 v8, 16, v3
	s_waitcnt vmcnt(0)
	v_mul_f16_sdwa v9, v8, v7 dst_sel:DWORD dst_unused:UNUSED_PAD src0_sel:DWORD src1_sel:WORD_1
	v_fma_f16 v9, v3, v7, v9
	v_mul_f16_sdwa v3, v3, v7 dst_sel:DWORD dst_unused:UNUSED_PAD src0_sel:DWORD src1_sel:WORD_1
	v_cvt_f32_f16_e32 v9, v9
	v_fma_f16 v3, v7, v8, -v3
	v_cvt_f32_f16_e32 v3, v3
	v_cvt_f64_f32_e32 v[7:8], v9
	v_cvt_f64_f32_e32 v[9:10], v3
	v_mov_b32_e32 v3, s12
	v_mul_f64 v[7:8], v[7:8], s[14:15]
	v_addc_co_u32_e32 v6, vcc, v6, v3, vcc
	v_mul_f64 v[9:10], v[9:10], s[14:15]
	v_and_or_b32 v3, v8, s16, v7
	v_cmp_ne_u32_e32 vcc, 0, v3
	v_lshrrev_b32_e32 v7, 8, v8
	v_and_or_b32 v9, v10, s16, v9
	v_bfe_u32 v11, v8, 20, 11
	v_cndmask_b32_e64 v3, 0, 1, vcc
	v_cmp_ne_u32_e32 vcc, 0, v9
	v_lshrrev_b32_e32 v12, 8, v10
	v_bfe_u32 v13, v10, 20, 11
	v_sub_u32_e32 v14, 0x3f1, v11
	v_cndmask_b32_e64 v9, 0, 1, vcc
	v_and_or_b32 v3, v7, s10, v3
	v_sub_u32_e32 v15, 0x3f1, v13
	v_med3_i32 v7, v14, 0, 13
	v_and_or_b32 v9, v12, s10, v9
	v_or_b32_e32 v14, 0x1000, v3
	v_add_u32_e32 v11, 0xfffffc10, v11
	v_med3_i32 v12, v15, 0, 13
	v_cmp_ne_u32_e32 vcc, 0, v3
	v_or_b32_e32 v16, 0x1000, v9
	v_lshrrev_b32_e32 v18, v7, v14
	v_add_u32_e32 v13, 0xfffffc10, v13
	v_lshl_or_b32 v15, v11, 12, v3
	v_cndmask_b32_e64 v3, 0, 1, vcc
	v_cmp_ne_u32_e32 vcc, 0, v9
	v_lshrrev_b32_e32 v20, v12, v16
	v_lshlrev_b32_e32 v7, v7, v18
	v_lshl_or_b32 v17, v13, 12, v9
	v_cndmask_b32_e64 v9, 0, 1, vcc
	v_lshlrev_b32_e32 v12, v12, v20
	v_cmp_ne_u32_e32 vcc, v7, v14
	v_cndmask_b32_e64 v7, 0, 1, vcc
	v_cmp_ne_u32_e32 vcc, v12, v16
	v_cndmask_b32_e64 v12, 0, 1, vcc
	v_or_b32_e32 v7, v18, v7
	v_cmp_gt_i32_e32 vcc, 1, v11
	v_cndmask_b32_e32 v7, v15, v7, vcc
	v_or_b32_e32 v12, v20, v12
	v_cmp_gt_i32_e32 vcc, 1, v13
	v_and_b32_e32 v14, 7, v7
	v_cndmask_b32_e32 v12, v17, v12, vcc
	v_cmp_lt_i32_e32 vcc, 5, v14
	v_cmp_eq_u32_e64 s[0:1], 3, v14
	v_lshrrev_b32_e32 v7, 2, v7
	v_and_b32_e32 v15, 7, v12
	s_or_b64 vcc, s[0:1], vcc
	v_cmp_lt_i32_e64 s[2:3], 5, v15
	v_cmp_eq_u32_e64 s[4:5], 3, v15
	v_addc_co_u32_e32 v7, vcc, 0, v7, vcc
	v_lshrrev_b32_e32 v12, 2, v12
	s_or_b64 vcc, s[4:5], s[2:3]
	v_addc_co_u32_e32 v12, vcc, 0, v12, vcc
	v_cmp_gt_i32_e32 vcc, 31, v11
	v_cndmask_b32_e32 v7, v0, v7, vcc
	v_cmp_gt_i32_e32 vcc, 31, v13
	v_lshl_or_b32 v3, v3, 9, v0
	v_cndmask_b32_e32 v12, v0, v12, vcc
	v_cmp_eq_u32_e32 vcc, s18, v11
	v_lshrrev_b32_e32 v8, 16, v8
	v_lshl_or_b32 v9, v9, 9, v0
	v_cndmask_b32_e32 v3, v7, v3, vcc
	v_cmp_eq_u32_e32 vcc, s18, v13
	v_lshrrev_b32_e32 v10, 16, v10
	v_cndmask_b32_e32 v7, v12, v9, vcc
	v_and_or_b32 v3, v8, s17, v3
	v_and_or_b32 v7, v10, s17, v7
	v_and_b32_e32 v3, 0xffff, v3
	v_lshl_or_b32 v3, v7, 16, v3
	global_store_dword v[5:6], v3, off
	global_load_dword v9, v26, s[6:7] offset:96
	v_mad_u64_u32 v[7:8], s[0:1], s8, v28, 0
	v_mov_b32_e32 v3, v8
	v_lshrrev_b32_e32 v8, 16, v4
	s_waitcnt vmcnt(0)
	v_mul_f16_sdwa v10, v8, v9 dst_sel:DWORD dst_unused:UNUSED_PAD src0_sel:DWORD src1_sel:WORD_1
	v_fma_f16 v10, v4, v9, v10
	v_mul_f16_sdwa v4, v4, v9 dst_sel:DWORD dst_unused:UNUSED_PAD src0_sel:DWORD src1_sel:WORD_1
	v_cvt_f32_f16_e32 v10, v10
	v_fma_f16 v4, v9, v8, -v4
	v_cvt_f32_f16_e32 v11, v4
	v_mad_u64_u32 v[3:4], s[0:1], s9, v28, v[3:4]
	v_cvt_f64_f32_e32 v[8:9], v10
	v_cvt_f64_f32_e32 v[10:11], v11
	v_mul_f64 v[12:13], v[8:9], s[14:15]
	v_mov_b32_e32 v8, v3
	v_lshlrev_b64 v[3:4], 2, v[7:8]
	v_mul_f64 v[7:8], v[10:11], s[14:15]
	v_add_co_u32_e32 v3, vcc, v1, v3
	v_addc_co_u32_e32 v4, vcc, v2, v4, vcc
	v_and_or_b32 v9, v13, s16, v12
	v_cmp_ne_u32_e32 vcc, 0, v9
	v_lshrrev_b32_e32 v10, 8, v13
	v_and_or_b32 v7, v8, s16, v7
	v_bfe_u32 v11, v13, 20, 11
	v_cndmask_b32_e64 v9, 0, 1, vcc
	v_cmp_ne_u32_e32 vcc, 0, v7
	v_lshrrev_b32_e32 v12, 16, v13
	v_lshrrev_b32_e32 v13, 8, v8
	v_bfe_u32 v14, v8, 20, 11
	v_sub_u32_e32 v15, 0x3f1, v11
	v_cndmask_b32_e64 v7, 0, 1, vcc
	v_and_or_b32 v9, v10, s10, v9
	v_sub_u32_e32 v16, 0x3f1, v14
	v_med3_i32 v10, v15, 0, 13
	v_and_or_b32 v7, v13, s10, v7
	v_or_b32_e32 v15, 0x1000, v9
	v_add_u32_e32 v11, 0xfffffc10, v11
	v_med3_i32 v13, v16, 0, 13
	v_cmp_ne_u32_e32 vcc, 0, v9
	v_or_b32_e32 v17, 0x1000, v7
	v_lshrrev_b32_e32 v20, v10, v15
	v_add_u32_e32 v14, 0xfffffc10, v14
	v_lshl_or_b32 v16, v11, 12, v9
	v_cndmask_b32_e64 v9, 0, 1, vcc
	v_cmp_ne_u32_e32 vcc, 0, v7
	v_lshrrev_b32_e32 v21, v13, v17
	v_lshlrev_b32_e32 v10, v10, v20
	v_lshl_or_b32 v18, v14, 12, v7
	v_cndmask_b32_e64 v7, 0, 1, vcc
	v_lshlrev_b32_e32 v13, v13, v21
	v_cmp_ne_u32_e32 vcc, v10, v15
	v_cndmask_b32_e64 v10, 0, 1, vcc
	v_cmp_ne_u32_e32 vcc, v13, v17
	v_cndmask_b32_e64 v13, 0, 1, vcc
	v_or_b32_e32 v10, v20, v10
	v_cmp_gt_i32_e32 vcc, 1, v11
	v_cndmask_b32_e32 v10, v16, v10, vcc
	v_or_b32_e32 v13, v21, v13
	v_cmp_gt_i32_e32 vcc, 1, v14
	v_and_b32_e32 v15, 7, v10
	v_cndmask_b32_e32 v13, v18, v13, vcc
	v_cmp_lt_i32_e32 vcc, 5, v15
	v_cmp_eq_u32_e64 s[0:1], 3, v15
	v_lshrrev_b32_e32 v10, 2, v10
	v_and_b32_e32 v16, 7, v13
	s_or_b64 vcc, s[0:1], vcc
	v_cmp_lt_i32_e64 s[2:3], 5, v16
	v_cmp_eq_u32_e64 s[4:5], 3, v16
	v_addc_co_u32_e32 v10, vcc, 0, v10, vcc
	v_lshrrev_b32_e32 v13, 2, v13
	s_or_b64 vcc, s[4:5], s[2:3]
	v_addc_co_u32_e32 v13, vcc, 0, v13, vcc
	v_cmp_gt_i32_e32 vcc, 31, v11
	v_cndmask_b32_e32 v10, v0, v10, vcc
	v_cmp_gt_i32_e32 vcc, 31, v14
	v_lshl_or_b32 v9, v9, 9, v0
	v_cndmask_b32_e32 v13, v0, v13, vcc
	v_cmp_eq_u32_e32 vcc, s18, v11
	v_lshl_or_b32 v7, v7, 9, v0
	v_cndmask_b32_e32 v9, v10, v9, vcc
	v_cmp_eq_u32_e32 vcc, s18, v14
	v_lshrrev_b32_e32 v8, 16, v8
	v_cndmask_b32_e32 v7, v13, v7, vcc
	v_and_or_b32 v9, v12, s17, v9
	v_and_or_b32 v7, v8, s17, v7
	v_and_b32_e32 v8, 0xffff, v9
	v_lshl_or_b32 v7, v7, 16, v8
	global_store_dword v[3:4], v7, off
	global_load_dword v7, v26, s[6:7] offset:120
	ds_read2_b32 v[3:4], v19 offset0:30 offset1:36
	s_mul_i32 s0, s9, 48
	s_add_i32 s19, s19, s0
	v_add_co_u32_e32 v5, vcc, s13, v5
	s_waitcnt lgkmcnt(0)
	v_lshrrev_b32_e32 v8, 16, v3
	s_waitcnt vmcnt(0)
	v_mul_f16_sdwa v9, v8, v7 dst_sel:DWORD dst_unused:UNUSED_PAD src0_sel:DWORD src1_sel:WORD_1
	v_fma_f16 v9, v3, v7, v9
	v_mul_f16_sdwa v3, v3, v7 dst_sel:DWORD dst_unused:UNUSED_PAD src0_sel:DWORD src1_sel:WORD_1
	v_cvt_f32_f16_e32 v9, v9
	v_fma_f16 v3, v7, v8, -v3
	v_cvt_f32_f16_e32 v3, v3
	v_cvt_f64_f32_e32 v[7:8], v9
	v_cvt_f64_f32_e32 v[9:10], v3
	v_mov_b32_e32 v3, s19
	v_mul_f64 v[7:8], v[7:8], s[14:15]
	v_addc_co_u32_e32 v6, vcc, v6, v3, vcc
	v_mul_f64 v[9:10], v[9:10], s[14:15]
	v_and_or_b32 v3, v8, s16, v7
	v_cmp_ne_u32_e32 vcc, 0, v3
	v_lshrrev_b32_e32 v7, 8, v8
	v_and_or_b32 v9, v10, s16, v9
	v_bfe_u32 v11, v8, 20, 11
	v_cndmask_b32_e64 v3, 0, 1, vcc
	v_cmp_ne_u32_e32 vcc, 0, v9
	v_lshrrev_b32_e32 v12, 8, v10
	v_bfe_u32 v13, v10, 20, 11
	v_sub_u32_e32 v14, 0x3f1, v11
	v_cndmask_b32_e64 v9, 0, 1, vcc
	v_and_or_b32 v3, v7, s10, v3
	v_sub_u32_e32 v15, 0x3f1, v13
	v_med3_i32 v7, v14, 0, 13
	v_and_or_b32 v9, v12, s10, v9
	v_or_b32_e32 v14, 0x1000, v3
	v_add_u32_e32 v11, 0xfffffc10, v11
	v_med3_i32 v12, v15, 0, 13
	v_cmp_ne_u32_e32 vcc, 0, v3
	v_or_b32_e32 v16, 0x1000, v9
	v_lshrrev_b32_e32 v18, v7, v14
	v_add_u32_e32 v13, 0xfffffc10, v13
	v_lshl_or_b32 v15, v11, 12, v3
	v_cndmask_b32_e64 v3, 0, 1, vcc
	v_cmp_ne_u32_e32 vcc, 0, v9
	v_lshrrev_b32_e32 v20, v12, v16
	v_lshlrev_b32_e32 v7, v7, v18
	v_lshl_or_b32 v17, v13, 12, v9
	v_cndmask_b32_e64 v9, 0, 1, vcc
	v_lshlrev_b32_e32 v12, v12, v20
	v_cmp_ne_u32_e32 vcc, v7, v14
	v_cndmask_b32_e64 v7, 0, 1, vcc
	v_cmp_ne_u32_e32 vcc, v12, v16
	v_cndmask_b32_e64 v12, 0, 1, vcc
	v_or_b32_e32 v7, v18, v7
	v_cmp_gt_i32_e32 vcc, 1, v11
	v_cndmask_b32_e32 v7, v15, v7, vcc
	v_or_b32_e32 v12, v20, v12
	v_cmp_gt_i32_e32 vcc, 1, v13
	v_and_b32_e32 v14, 7, v7
	v_cndmask_b32_e32 v12, v17, v12, vcc
	v_cmp_lt_i32_e32 vcc, 5, v14
	v_cmp_eq_u32_e64 s[0:1], 3, v14
	v_lshrrev_b32_e32 v7, 2, v7
	v_and_b32_e32 v15, 7, v12
	s_or_b64 vcc, s[0:1], vcc
	v_cmp_lt_i32_e64 s[2:3], 5, v15
	v_cmp_eq_u32_e64 s[4:5], 3, v15
	v_addc_co_u32_e32 v7, vcc, 0, v7, vcc
	v_lshrrev_b32_e32 v12, 2, v12
	s_or_b64 vcc, s[4:5], s[2:3]
	v_addc_co_u32_e32 v12, vcc, 0, v12, vcc
	v_cmp_gt_i32_e32 vcc, 31, v11
	v_cndmask_b32_e32 v7, v0, v7, vcc
	v_cmp_gt_i32_e32 vcc, 31, v13
	v_lshl_or_b32 v3, v3, 9, v0
	v_cndmask_b32_e32 v12, v0, v12, vcc
	v_cmp_eq_u32_e32 vcc, s18, v11
	v_lshrrev_b32_e32 v8, 16, v8
	v_lshl_or_b32 v9, v9, 9, v0
	v_cndmask_b32_e32 v3, v7, v3, vcc
	v_cmp_eq_u32_e32 vcc, s18, v13
	v_lshrrev_b32_e32 v10, 16, v10
	v_cndmask_b32_e32 v7, v12, v9, vcc
	v_and_or_b32 v3, v8, s17, v3
	v_and_or_b32 v7, v10, s17, v7
	v_and_b32_e32 v3, 0xffff, v3
	v_lshl_or_b32 v3, v7, 16, v3
	global_store_dword v[5:6], v3, off
	global_load_dword v3, v26, s[6:7] offset:144
	v_lshrrev_b32_e32 v7, 16, v4
	v_mov_b32_e32 v9, s12
	v_add_co_u32_e32 v5, vcc, s11, v5
	v_addc_co_u32_e32 v6, vcc, v6, v9, vcc
	s_waitcnt vmcnt(0)
	v_mul_f16_sdwa v8, v7, v3 dst_sel:DWORD dst_unused:UNUSED_PAD src0_sel:DWORD src1_sel:WORD_1
	v_fma_f16 v8, v4, v3, v8
	v_mul_f16_sdwa v4, v4, v3 dst_sel:DWORD dst_unused:UNUSED_PAD src0_sel:DWORD src1_sel:WORD_1
	v_cvt_f32_f16_e32 v8, v8
	v_fma_f16 v3, v3, v7, -v4
	v_cvt_f32_f16_e32 v7, v3
	v_cvt_f64_f32_e32 v[3:4], v8
	v_cvt_f64_f32_e32 v[7:8], v7
	v_mul_f64 v[3:4], v[3:4], s[14:15]
	v_mul_f64 v[7:8], v[7:8], s[14:15]
	v_and_or_b32 v3, v4, s16, v3
	v_cmp_ne_u32_e32 vcc, 0, v3
	v_and_or_b32 v7, v8, s16, v7
	v_lshrrev_b32_e32 v9, 8, v4
	v_bfe_u32 v10, v4, 20, 11
	v_cndmask_b32_e64 v3, 0, 1, vcc
	v_cmp_ne_u32_e32 vcc, 0, v7
	v_lshrrev_b32_e32 v11, 8, v8
	v_bfe_u32 v12, v8, 20, 11
	v_sub_u32_e32 v13, 0x3f1, v10
	v_cndmask_b32_e64 v7, 0, 1, vcc
	v_and_or_b32 v3, v9, s10, v3
	v_sub_u32_e32 v14, 0x3f1, v12
	v_med3_i32 v9, v13, 0, 13
	v_and_or_b32 v7, v11, s10, v7
	v_or_b32_e32 v13, 0x1000, v3
	v_add_u32_e32 v10, 0xfffffc10, v10
	v_med3_i32 v11, v14, 0, 13
	v_cmp_ne_u32_e32 vcc, 0, v3
	v_or_b32_e32 v15, 0x1000, v7
	v_lshrrev_b32_e32 v17, v9, v13
	v_add_u32_e32 v12, 0xfffffc10, v12
	v_lshl_or_b32 v14, v10, 12, v3
	v_cndmask_b32_e64 v3, 0, 1, vcc
	v_cmp_ne_u32_e32 vcc, 0, v7
	v_lshrrev_b32_e32 v18, v11, v15
	v_lshlrev_b32_e32 v9, v9, v17
	v_lshl_or_b32 v16, v12, 12, v7
	v_cndmask_b32_e64 v7, 0, 1, vcc
	v_lshlrev_b32_e32 v11, v11, v18
	v_cmp_ne_u32_e32 vcc, v9, v13
	v_cndmask_b32_e64 v9, 0, 1, vcc
	v_cmp_ne_u32_e32 vcc, v11, v15
	v_cndmask_b32_e64 v11, 0, 1, vcc
	v_or_b32_e32 v9, v17, v9
	v_cmp_gt_i32_e32 vcc, 1, v10
	v_cndmask_b32_e32 v9, v14, v9, vcc
	v_or_b32_e32 v11, v18, v11
	v_cmp_gt_i32_e32 vcc, 1, v12
	v_and_b32_e32 v13, 7, v9
	v_cndmask_b32_e32 v11, v16, v11, vcc
	v_cmp_lt_i32_e32 vcc, 5, v13
	v_cmp_eq_u32_e64 s[0:1], 3, v13
	v_lshrrev_b32_e32 v9, 2, v9
	v_and_b32_e32 v14, 7, v11
	s_or_b64 vcc, s[0:1], vcc
	v_cmp_lt_i32_e64 s[2:3], 5, v14
	v_cmp_eq_u32_e64 s[4:5], 3, v14
	v_addc_co_u32_e32 v9, vcc, 0, v9, vcc
	v_lshrrev_b32_e32 v11, 2, v11
	s_or_b64 vcc, s[4:5], s[2:3]
	v_addc_co_u32_e32 v11, vcc, 0, v11, vcc
	v_cmp_gt_i32_e32 vcc, 31, v10
	v_cndmask_b32_e32 v9, v0, v9, vcc
	v_cmp_gt_i32_e32 vcc, 31, v12
	v_lshl_or_b32 v3, v3, 9, v0
	v_cndmask_b32_e32 v11, v0, v11, vcc
	v_cmp_eq_u32_e32 vcc, s18, v10
	v_lshrrev_b32_e32 v4, 16, v4
	v_lshl_or_b32 v7, v7, 9, v0
	v_cndmask_b32_e32 v3, v9, v3, vcc
	v_cmp_eq_u32_e32 vcc, s18, v12
	v_lshrrev_b32_e32 v8, 16, v8
	v_cndmask_b32_e32 v7, v11, v7, vcc
	v_and_or_b32 v3, v4, s17, v3
	v_and_or_b32 v4, v8, s17, v7
	v_and_b32_e32 v3, 0xffff, v3
	v_lshl_or_b32 v3, v4, 16, v3
	global_store_dword v[5:6], v3, off
	global_load_dword v7, v26, s[6:7] offset:168
	ds_read2_b32 v[3:4], v19 offset0:42 offset1:48
	v_add_co_u32_e32 v5, vcc, s11, v5
	s_waitcnt lgkmcnt(0)
	v_lshrrev_b32_e32 v8, 16, v3
	s_waitcnt vmcnt(0)
	v_mul_f16_sdwa v9, v8, v7 dst_sel:DWORD dst_unused:UNUSED_PAD src0_sel:DWORD src1_sel:WORD_1
	v_fma_f16 v9, v3, v7, v9
	v_mul_f16_sdwa v3, v3, v7 dst_sel:DWORD dst_unused:UNUSED_PAD src0_sel:DWORD src1_sel:WORD_1
	v_cvt_f32_f16_e32 v9, v9
	v_fma_f16 v3, v7, v8, -v3
	v_cvt_f32_f16_e32 v3, v3
	v_cvt_f64_f32_e32 v[7:8], v9
	v_cvt_f64_f32_e32 v[9:10], v3
	v_mov_b32_e32 v3, s12
	v_mul_f64 v[7:8], v[7:8], s[14:15]
	v_addc_co_u32_e32 v6, vcc, v6, v3, vcc
	v_mul_f64 v[9:10], v[9:10], s[14:15]
	v_and_or_b32 v3, v8, s16, v7
	v_cmp_ne_u32_e32 vcc, 0, v3
	v_lshrrev_b32_e32 v7, 8, v8
	v_and_or_b32 v9, v10, s16, v9
	v_bfe_u32 v11, v8, 20, 11
	v_cndmask_b32_e64 v3, 0, 1, vcc
	v_cmp_ne_u32_e32 vcc, 0, v9
	v_lshrrev_b32_e32 v12, 8, v10
	v_bfe_u32 v13, v10, 20, 11
	v_sub_u32_e32 v14, 0x3f1, v11
	v_cndmask_b32_e64 v9, 0, 1, vcc
	v_and_or_b32 v3, v7, s10, v3
	v_sub_u32_e32 v15, 0x3f1, v13
	v_med3_i32 v7, v14, 0, 13
	v_and_or_b32 v9, v12, s10, v9
	v_or_b32_e32 v14, 0x1000, v3
	v_add_u32_e32 v11, 0xfffffc10, v11
	v_med3_i32 v12, v15, 0, 13
	v_cmp_ne_u32_e32 vcc, 0, v3
	v_or_b32_e32 v16, 0x1000, v9
	v_lshrrev_b32_e32 v18, v7, v14
	v_add_u32_e32 v13, 0xfffffc10, v13
	v_lshl_or_b32 v15, v11, 12, v3
	v_cndmask_b32_e64 v3, 0, 1, vcc
	v_cmp_ne_u32_e32 vcc, 0, v9
	v_lshrrev_b32_e32 v20, v12, v16
	v_lshlrev_b32_e32 v7, v7, v18
	v_lshl_or_b32 v17, v13, 12, v9
	v_cndmask_b32_e64 v9, 0, 1, vcc
	v_lshlrev_b32_e32 v12, v12, v20
	v_cmp_ne_u32_e32 vcc, v7, v14
	v_cndmask_b32_e64 v7, 0, 1, vcc
	v_cmp_ne_u32_e32 vcc, v12, v16
	v_cndmask_b32_e64 v12, 0, 1, vcc
	v_or_b32_e32 v7, v18, v7
	v_cmp_gt_i32_e32 vcc, 1, v11
	v_cndmask_b32_e32 v7, v15, v7, vcc
	v_or_b32_e32 v12, v20, v12
	v_cmp_gt_i32_e32 vcc, 1, v13
	v_and_b32_e32 v14, 7, v7
	v_cndmask_b32_e32 v12, v17, v12, vcc
	v_cmp_lt_i32_e32 vcc, 5, v14
	v_cmp_eq_u32_e64 s[0:1], 3, v14
	v_lshrrev_b32_e32 v7, 2, v7
	v_and_b32_e32 v15, 7, v12
	s_or_b64 vcc, s[0:1], vcc
	v_cmp_lt_i32_e64 s[2:3], 5, v15
	v_cmp_eq_u32_e64 s[4:5], 3, v15
	v_addc_co_u32_e32 v7, vcc, 0, v7, vcc
	v_lshrrev_b32_e32 v12, 2, v12
	s_or_b64 vcc, s[4:5], s[2:3]
	v_addc_co_u32_e32 v12, vcc, 0, v12, vcc
	v_cmp_gt_i32_e32 vcc, 31, v11
	v_cndmask_b32_e32 v7, v0, v7, vcc
	v_cmp_gt_i32_e32 vcc, 31, v13
	v_lshl_or_b32 v3, v3, 9, v0
	v_cndmask_b32_e32 v12, v0, v12, vcc
	v_cmp_eq_u32_e32 vcc, s18, v11
	v_lshrrev_b32_e32 v8, 16, v8
	v_lshl_or_b32 v9, v9, 9, v0
	v_cndmask_b32_e32 v3, v7, v3, vcc
	v_cmp_eq_u32_e32 vcc, s18, v13
	v_lshrrev_b32_e32 v10, 16, v10
	v_cndmask_b32_e32 v7, v12, v9, vcc
	v_and_or_b32 v3, v8, s17, v3
	v_and_or_b32 v7, v10, s17, v7
	v_and_b32_e32 v3, 0xffff, v3
	v_lshl_or_b32 v3, v7, 16, v3
	global_store_dword v[5:6], v3, off
	global_load_dword v9, v26, s[6:7] offset:192
	v_mad_u64_u32 v[7:8], s[0:1], s8, v27, 0
	v_mov_b32_e32 v3, v8
	v_lshrrev_b32_e32 v8, 16, v4
	s_waitcnt vmcnt(0)
	v_mul_f16_sdwa v10, v8, v9 dst_sel:DWORD dst_unused:UNUSED_PAD src0_sel:DWORD src1_sel:WORD_1
	v_fma_f16 v10, v4, v9, v10
	v_mul_f16_sdwa v4, v4, v9 dst_sel:DWORD dst_unused:UNUSED_PAD src0_sel:DWORD src1_sel:WORD_1
	v_cvt_f32_f16_e32 v10, v10
	v_fma_f16 v4, v9, v8, -v4
	v_cvt_f32_f16_e32 v11, v4
	v_mad_u64_u32 v[3:4], s[0:1], s9, v27, v[3:4]
	v_cvt_f64_f32_e32 v[8:9], v10
	v_cvt_f64_f32_e32 v[10:11], v11
	v_mul_f64 v[12:13], v[8:9], s[14:15]
	v_mov_b32_e32 v8, v3
	v_lshlrev_b64 v[3:4], 2, v[7:8]
	v_mul_f64 v[7:8], v[10:11], s[14:15]
	v_add_co_u32_e32 v3, vcc, v1, v3
	v_addc_co_u32_e32 v4, vcc, v2, v4, vcc
	v_and_or_b32 v9, v13, s16, v12
	v_cmp_ne_u32_e32 vcc, 0, v9
	v_lshrrev_b32_e32 v10, 8, v13
	v_and_or_b32 v7, v8, s16, v7
	v_bfe_u32 v11, v13, 20, 11
	v_cndmask_b32_e64 v9, 0, 1, vcc
	v_cmp_ne_u32_e32 vcc, 0, v7
	v_lshrrev_b32_e32 v12, 16, v13
	v_lshrrev_b32_e32 v13, 8, v8
	v_bfe_u32 v14, v8, 20, 11
	v_sub_u32_e32 v15, 0x3f1, v11
	v_cndmask_b32_e64 v7, 0, 1, vcc
	v_and_or_b32 v9, v10, s10, v9
	v_sub_u32_e32 v16, 0x3f1, v14
	v_med3_i32 v10, v15, 0, 13
	v_and_or_b32 v7, v13, s10, v7
	v_or_b32_e32 v15, 0x1000, v9
	v_add_u32_e32 v11, 0xfffffc10, v11
	v_med3_i32 v13, v16, 0, 13
	v_cmp_ne_u32_e32 vcc, 0, v9
	v_or_b32_e32 v17, 0x1000, v7
	v_lshrrev_b32_e32 v20, v10, v15
	v_add_u32_e32 v14, 0xfffffc10, v14
	v_lshl_or_b32 v16, v11, 12, v9
	v_cndmask_b32_e64 v9, 0, 1, vcc
	v_cmp_ne_u32_e32 vcc, 0, v7
	v_lshrrev_b32_e32 v21, v13, v17
	v_lshlrev_b32_e32 v10, v10, v20
	v_lshl_or_b32 v18, v14, 12, v7
	v_cndmask_b32_e64 v7, 0, 1, vcc
	v_lshlrev_b32_e32 v13, v13, v21
	v_cmp_ne_u32_e32 vcc, v10, v15
	v_cndmask_b32_e64 v10, 0, 1, vcc
	v_cmp_ne_u32_e32 vcc, v13, v17
	v_cndmask_b32_e64 v13, 0, 1, vcc
	v_or_b32_e32 v10, v20, v10
	v_cmp_gt_i32_e32 vcc, 1, v11
	v_cndmask_b32_e32 v10, v16, v10, vcc
	v_or_b32_e32 v13, v21, v13
	v_cmp_gt_i32_e32 vcc, 1, v14
	v_and_b32_e32 v15, 7, v10
	v_cndmask_b32_e32 v13, v18, v13, vcc
	v_cmp_lt_i32_e32 vcc, 5, v15
	v_cmp_eq_u32_e64 s[0:1], 3, v15
	v_lshrrev_b32_e32 v10, 2, v10
	v_and_b32_e32 v16, 7, v13
	s_or_b64 vcc, s[0:1], vcc
	v_cmp_lt_i32_e64 s[2:3], 5, v16
	v_cmp_eq_u32_e64 s[4:5], 3, v16
	v_addc_co_u32_e32 v10, vcc, 0, v10, vcc
	v_lshrrev_b32_e32 v13, 2, v13
	s_or_b64 vcc, s[4:5], s[2:3]
	v_addc_co_u32_e32 v13, vcc, 0, v13, vcc
	v_cmp_gt_i32_e32 vcc, 31, v11
	v_cndmask_b32_e32 v10, v0, v10, vcc
	v_cmp_gt_i32_e32 vcc, 31, v14
	v_lshl_or_b32 v9, v9, 9, v0
	v_cndmask_b32_e32 v13, v0, v13, vcc
	v_cmp_eq_u32_e32 vcc, s18, v11
	v_lshl_or_b32 v7, v7, 9, v0
	v_cndmask_b32_e32 v9, v10, v9, vcc
	v_cmp_eq_u32_e32 vcc, s18, v14
	v_lshrrev_b32_e32 v8, 16, v8
	v_cndmask_b32_e32 v7, v13, v7, vcc
	v_and_or_b32 v9, v12, s17, v9
	v_and_or_b32 v7, v8, s17, v7
	v_and_b32_e32 v8, 0xffff, v9
	v_lshl_or_b32 v7, v7, 16, v8
	global_store_dword v[3:4], v7, off
	global_load_dword v7, v26, s[6:7] offset:216
	ds_read2_b32 v[3:4], v19 offset0:54 offset1:60
	v_add_co_u32_e32 v5, vcc, s13, v5
	s_waitcnt lgkmcnt(0)
	v_lshrrev_b32_e32 v8, 16, v3
	s_waitcnt vmcnt(0)
	v_mul_f16_sdwa v9, v8, v7 dst_sel:DWORD dst_unused:UNUSED_PAD src0_sel:DWORD src1_sel:WORD_1
	v_fma_f16 v9, v3, v7, v9
	v_mul_f16_sdwa v3, v3, v7 dst_sel:DWORD dst_unused:UNUSED_PAD src0_sel:DWORD src1_sel:WORD_1
	v_cvt_f32_f16_e32 v9, v9
	v_fma_f16 v3, v7, v8, -v3
	v_cvt_f32_f16_e32 v3, v3
	v_cvt_f64_f32_e32 v[7:8], v9
	v_cvt_f64_f32_e32 v[9:10], v3
	v_mov_b32_e32 v3, s19
	v_mul_f64 v[7:8], v[7:8], s[14:15]
	v_addc_co_u32_e32 v6, vcc, v6, v3, vcc
	v_mul_f64 v[9:10], v[9:10], s[14:15]
	v_and_or_b32 v3, v8, s16, v7
	v_cmp_ne_u32_e32 vcc, 0, v3
	v_lshrrev_b32_e32 v7, 8, v8
	v_and_or_b32 v9, v10, s16, v9
	v_bfe_u32 v11, v8, 20, 11
	v_cndmask_b32_e64 v3, 0, 1, vcc
	v_cmp_ne_u32_e32 vcc, 0, v9
	v_lshrrev_b32_e32 v12, 8, v10
	v_bfe_u32 v13, v10, 20, 11
	v_sub_u32_e32 v14, 0x3f1, v11
	v_cndmask_b32_e64 v9, 0, 1, vcc
	v_and_or_b32 v3, v7, s10, v3
	v_sub_u32_e32 v15, 0x3f1, v13
	v_med3_i32 v7, v14, 0, 13
	v_and_or_b32 v9, v12, s10, v9
	v_or_b32_e32 v14, 0x1000, v3
	v_add_u32_e32 v11, 0xfffffc10, v11
	v_med3_i32 v12, v15, 0, 13
	v_cmp_ne_u32_e32 vcc, 0, v3
	v_or_b32_e32 v16, 0x1000, v9
	v_lshrrev_b32_e32 v18, v7, v14
	v_add_u32_e32 v13, 0xfffffc10, v13
	v_lshl_or_b32 v15, v11, 12, v3
	v_cndmask_b32_e64 v3, 0, 1, vcc
	v_cmp_ne_u32_e32 vcc, 0, v9
	v_lshrrev_b32_e32 v20, v12, v16
	v_lshlrev_b32_e32 v7, v7, v18
	v_lshl_or_b32 v17, v13, 12, v9
	v_cndmask_b32_e64 v9, 0, 1, vcc
	v_lshlrev_b32_e32 v12, v12, v20
	v_cmp_ne_u32_e32 vcc, v7, v14
	v_cndmask_b32_e64 v7, 0, 1, vcc
	v_cmp_ne_u32_e32 vcc, v12, v16
	v_cndmask_b32_e64 v12, 0, 1, vcc
	v_or_b32_e32 v7, v18, v7
	v_cmp_gt_i32_e32 vcc, 1, v11
	v_cndmask_b32_e32 v7, v15, v7, vcc
	v_or_b32_e32 v12, v20, v12
	v_cmp_gt_i32_e32 vcc, 1, v13
	v_and_b32_e32 v14, 7, v7
	v_cndmask_b32_e32 v12, v17, v12, vcc
	v_cmp_lt_i32_e32 vcc, 5, v14
	v_cmp_eq_u32_e64 s[0:1], 3, v14
	v_lshrrev_b32_e32 v7, 2, v7
	v_and_b32_e32 v15, 7, v12
	s_or_b64 vcc, s[0:1], vcc
	v_cmp_lt_i32_e64 s[2:3], 5, v15
	v_cmp_eq_u32_e64 s[4:5], 3, v15
	v_addc_co_u32_e32 v7, vcc, 0, v7, vcc
	v_lshrrev_b32_e32 v12, 2, v12
	s_or_b64 vcc, s[4:5], s[2:3]
	v_addc_co_u32_e32 v12, vcc, 0, v12, vcc
	v_cmp_gt_i32_e32 vcc, 31, v11
	v_cndmask_b32_e32 v7, v0, v7, vcc
	v_cmp_gt_i32_e32 vcc, 31, v13
	v_lshl_or_b32 v3, v3, 9, v0
	v_cndmask_b32_e32 v12, v0, v12, vcc
	v_cmp_eq_u32_e32 vcc, s18, v11
	v_lshrrev_b32_e32 v8, 16, v8
	v_lshl_or_b32 v9, v9, 9, v0
	v_cndmask_b32_e32 v3, v7, v3, vcc
	v_cmp_eq_u32_e32 vcc, s18, v13
	v_lshrrev_b32_e32 v10, 16, v10
	v_cndmask_b32_e32 v7, v12, v9, vcc
	v_and_or_b32 v3, v8, s17, v3
	v_and_or_b32 v7, v10, s17, v7
	v_and_b32_e32 v3, 0xffff, v3
	v_lshl_or_b32 v3, v7, 16, v3
	global_store_dword v[5:6], v3, off
	global_load_dword v3, v26, s[6:7] offset:240
	v_lshrrev_b32_e32 v7, 16, v4
	v_mov_b32_e32 v9, s12
	v_add_co_u32_e32 v5, vcc, s11, v5
	v_addc_co_u32_e32 v6, vcc, v6, v9, vcc
	s_waitcnt vmcnt(0)
	v_mul_f16_sdwa v8, v7, v3 dst_sel:DWORD dst_unused:UNUSED_PAD src0_sel:DWORD src1_sel:WORD_1
	v_fma_f16 v8, v4, v3, v8
	v_mul_f16_sdwa v4, v4, v3 dst_sel:DWORD dst_unused:UNUSED_PAD src0_sel:DWORD src1_sel:WORD_1
	v_cvt_f32_f16_e32 v8, v8
	v_fma_f16 v3, v3, v7, -v4
	v_cvt_f32_f16_e32 v7, v3
	v_cvt_f64_f32_e32 v[3:4], v8
	v_cvt_f64_f32_e32 v[7:8], v7
	v_mul_f64 v[3:4], v[3:4], s[14:15]
	v_mul_f64 v[7:8], v[7:8], s[14:15]
	v_and_or_b32 v3, v4, s16, v3
	v_cmp_ne_u32_e32 vcc, 0, v3
	v_and_or_b32 v7, v8, s16, v7
	v_lshrrev_b32_e32 v9, 8, v4
	v_bfe_u32 v10, v4, 20, 11
	v_cndmask_b32_e64 v3, 0, 1, vcc
	v_cmp_ne_u32_e32 vcc, 0, v7
	v_lshrrev_b32_e32 v11, 8, v8
	v_bfe_u32 v12, v8, 20, 11
	v_sub_u32_e32 v13, 0x3f1, v10
	v_cndmask_b32_e64 v7, 0, 1, vcc
	v_and_or_b32 v3, v9, s10, v3
	v_sub_u32_e32 v14, 0x3f1, v12
	v_med3_i32 v9, v13, 0, 13
	v_and_or_b32 v7, v11, s10, v7
	v_or_b32_e32 v13, 0x1000, v3
	v_add_u32_e32 v10, 0xfffffc10, v10
	v_med3_i32 v11, v14, 0, 13
	v_cmp_ne_u32_e32 vcc, 0, v3
	v_or_b32_e32 v15, 0x1000, v7
	v_lshrrev_b32_e32 v17, v9, v13
	v_add_u32_e32 v12, 0xfffffc10, v12
	v_lshl_or_b32 v14, v10, 12, v3
	v_cndmask_b32_e64 v3, 0, 1, vcc
	v_cmp_ne_u32_e32 vcc, 0, v7
	v_lshrrev_b32_e32 v18, v11, v15
	v_lshlrev_b32_e32 v9, v9, v17
	v_lshl_or_b32 v16, v12, 12, v7
	v_cndmask_b32_e64 v7, 0, 1, vcc
	v_lshlrev_b32_e32 v11, v11, v18
	v_cmp_ne_u32_e32 vcc, v9, v13
	v_cndmask_b32_e64 v9, 0, 1, vcc
	v_cmp_ne_u32_e32 vcc, v11, v15
	v_cndmask_b32_e64 v11, 0, 1, vcc
	v_or_b32_e32 v9, v17, v9
	v_cmp_gt_i32_e32 vcc, 1, v10
	v_cndmask_b32_e32 v9, v14, v9, vcc
	v_or_b32_e32 v11, v18, v11
	v_cmp_gt_i32_e32 vcc, 1, v12
	v_and_b32_e32 v13, 7, v9
	v_cndmask_b32_e32 v11, v16, v11, vcc
	v_cmp_lt_i32_e32 vcc, 5, v13
	v_cmp_eq_u32_e64 s[0:1], 3, v13
	v_lshrrev_b32_e32 v9, 2, v9
	v_and_b32_e32 v14, 7, v11
	s_or_b64 vcc, s[0:1], vcc
	v_cmp_lt_i32_e64 s[2:3], 5, v14
	v_cmp_eq_u32_e64 s[4:5], 3, v14
	v_addc_co_u32_e32 v9, vcc, 0, v9, vcc
	v_lshrrev_b32_e32 v11, 2, v11
	s_or_b64 vcc, s[4:5], s[2:3]
	v_addc_co_u32_e32 v11, vcc, 0, v11, vcc
	v_cmp_gt_i32_e32 vcc, 31, v10
	v_cndmask_b32_e32 v9, v0, v9, vcc
	v_cmp_gt_i32_e32 vcc, 31, v12
	v_lshl_or_b32 v3, v3, 9, v0
	v_cndmask_b32_e32 v11, v0, v11, vcc
	v_cmp_eq_u32_e32 vcc, s18, v10
	v_lshrrev_b32_e32 v4, 16, v4
	v_lshl_or_b32 v7, v7, 9, v0
	v_cndmask_b32_e32 v3, v9, v3, vcc
	v_cmp_eq_u32_e32 vcc, s18, v12
	v_lshrrev_b32_e32 v8, 16, v8
	v_cndmask_b32_e32 v7, v11, v7, vcc
	v_and_or_b32 v3, v4, s17, v3
	v_and_or_b32 v4, v8, s17, v7
	v_and_b32_e32 v3, 0xffff, v3
	v_lshl_or_b32 v3, v4, 16, v3
	global_store_dword v[5:6], v3, off
	global_load_dword v7, v26, s[6:7] offset:264
	ds_read2_b32 v[3:4], v19 offset0:66 offset1:72
	v_add_co_u32_e32 v5, vcc, s11, v5
	s_waitcnt lgkmcnt(0)
	v_lshrrev_b32_e32 v8, 16, v3
	s_waitcnt vmcnt(0)
	v_mul_f16_sdwa v9, v8, v7 dst_sel:DWORD dst_unused:UNUSED_PAD src0_sel:DWORD src1_sel:WORD_1
	v_fma_f16 v9, v3, v7, v9
	v_mul_f16_sdwa v3, v3, v7 dst_sel:DWORD dst_unused:UNUSED_PAD src0_sel:DWORD src1_sel:WORD_1
	v_cvt_f32_f16_e32 v9, v9
	v_fma_f16 v3, v7, v8, -v3
	v_cvt_f32_f16_e32 v3, v3
	v_cvt_f64_f32_e32 v[7:8], v9
	v_cvt_f64_f32_e32 v[9:10], v3
	v_mov_b32_e32 v3, s12
	v_mul_f64 v[7:8], v[7:8], s[14:15]
	v_addc_co_u32_e32 v6, vcc, v6, v3, vcc
	v_mul_f64 v[9:10], v[9:10], s[14:15]
	v_and_or_b32 v3, v8, s16, v7
	v_cmp_ne_u32_e32 vcc, 0, v3
	v_lshrrev_b32_e32 v7, 8, v8
	v_and_or_b32 v9, v10, s16, v9
	v_bfe_u32 v11, v8, 20, 11
	v_cndmask_b32_e64 v3, 0, 1, vcc
	v_cmp_ne_u32_e32 vcc, 0, v9
	v_lshrrev_b32_e32 v12, 8, v10
	v_bfe_u32 v13, v10, 20, 11
	v_sub_u32_e32 v14, 0x3f1, v11
	v_cndmask_b32_e64 v9, 0, 1, vcc
	v_and_or_b32 v3, v7, s10, v3
	v_sub_u32_e32 v15, 0x3f1, v13
	v_med3_i32 v7, v14, 0, 13
	v_and_or_b32 v9, v12, s10, v9
	v_or_b32_e32 v14, 0x1000, v3
	v_add_u32_e32 v11, 0xfffffc10, v11
	v_med3_i32 v12, v15, 0, 13
	v_cmp_ne_u32_e32 vcc, 0, v3
	v_or_b32_e32 v16, 0x1000, v9
	v_lshrrev_b32_e32 v18, v7, v14
	v_add_u32_e32 v13, 0xfffffc10, v13
	v_lshl_or_b32 v15, v11, 12, v3
	v_cndmask_b32_e64 v3, 0, 1, vcc
	v_cmp_ne_u32_e32 vcc, 0, v9
	v_lshrrev_b32_e32 v20, v12, v16
	v_lshlrev_b32_e32 v7, v7, v18
	v_lshl_or_b32 v17, v13, 12, v9
	v_cndmask_b32_e64 v9, 0, 1, vcc
	v_lshlrev_b32_e32 v12, v12, v20
	v_cmp_ne_u32_e32 vcc, v7, v14
	v_cndmask_b32_e64 v7, 0, 1, vcc
	v_cmp_ne_u32_e32 vcc, v12, v16
	v_cndmask_b32_e64 v12, 0, 1, vcc
	v_or_b32_e32 v7, v18, v7
	v_cmp_gt_i32_e32 vcc, 1, v11
	v_cndmask_b32_e32 v7, v15, v7, vcc
	v_or_b32_e32 v12, v20, v12
	v_cmp_gt_i32_e32 vcc, 1, v13
	v_and_b32_e32 v14, 7, v7
	v_cndmask_b32_e32 v12, v17, v12, vcc
	v_cmp_lt_i32_e32 vcc, 5, v14
	v_cmp_eq_u32_e64 s[0:1], 3, v14
	v_lshrrev_b32_e32 v7, 2, v7
	v_and_b32_e32 v15, 7, v12
	s_or_b64 vcc, s[0:1], vcc
	v_cmp_lt_i32_e64 s[2:3], 5, v15
	v_cmp_eq_u32_e64 s[4:5], 3, v15
	v_addc_co_u32_e32 v7, vcc, 0, v7, vcc
	v_lshrrev_b32_e32 v12, 2, v12
	s_or_b64 vcc, s[4:5], s[2:3]
	v_addc_co_u32_e32 v12, vcc, 0, v12, vcc
	v_cmp_gt_i32_e32 vcc, 31, v11
	v_cndmask_b32_e32 v7, v0, v7, vcc
	v_cmp_gt_i32_e32 vcc, 31, v13
	v_lshl_or_b32 v3, v3, 9, v0
	v_cndmask_b32_e32 v12, v0, v12, vcc
	v_cmp_eq_u32_e32 vcc, s18, v11
	v_lshrrev_b32_e32 v8, 16, v8
	v_lshl_or_b32 v9, v9, 9, v0
	v_cndmask_b32_e32 v3, v7, v3, vcc
	v_cmp_eq_u32_e32 vcc, s18, v13
	v_lshrrev_b32_e32 v10, 16, v10
	v_cndmask_b32_e32 v7, v12, v9, vcc
	v_and_or_b32 v3, v8, s17, v3
	v_and_or_b32 v7, v10, s17, v7
	v_and_b32_e32 v3, 0xffff, v3
	v_lshl_or_b32 v3, v7, 16, v3
	global_store_dword v[5:6], v3, off
	global_load_dword v9, v26, s[6:7] offset:288
	v_or_b32_e32 v10, 0x48, v25
	v_mad_u64_u32 v[7:8], s[0:1], s8, v10, 0
	v_lshrrev_b32_e32 v11, 16, v4
	v_mov_b32_e32 v3, v8
	s_waitcnt vmcnt(0)
	v_mul_f16_sdwa v8, v11, v9 dst_sel:DWORD dst_unused:UNUSED_PAD src0_sel:DWORD src1_sel:WORD_1
	v_fma_f16 v8, v4, v9, v8
	v_mul_f16_sdwa v4, v4, v9 dst_sel:DWORD dst_unused:UNUSED_PAD src0_sel:DWORD src1_sel:WORD_1
	v_cvt_f32_f16_e32 v8, v8
	v_fma_f16 v4, v9, v11, -v4
	v_cvt_f32_f16_e32 v11, v4
	v_mad_u64_u32 v[3:4], s[0:1], s9, v10, v[3:4]
	v_cvt_f64_f32_e32 v[8:9], v8
	v_cvt_f64_f32_e32 v[10:11], v11
	v_mul_f64 v[12:13], v[8:9], s[14:15]
	v_mov_b32_e32 v8, v3
	v_lshlrev_b64 v[3:4], 2, v[7:8]
	v_mul_f64 v[7:8], v[10:11], s[14:15]
	v_add_co_u32_e32 v3, vcc, v1, v3
	v_addc_co_u32_e32 v4, vcc, v2, v4, vcc
	v_and_or_b32 v9, v13, s16, v12
	v_cmp_ne_u32_e32 vcc, 0, v9
	v_lshrrev_b32_e32 v10, 8, v13
	v_and_or_b32 v7, v8, s16, v7
	v_bfe_u32 v11, v13, 20, 11
	v_cndmask_b32_e64 v9, 0, 1, vcc
	v_cmp_ne_u32_e32 vcc, 0, v7
	v_lshrrev_b32_e32 v12, 16, v13
	v_lshrrev_b32_e32 v13, 8, v8
	v_bfe_u32 v14, v8, 20, 11
	v_sub_u32_e32 v15, 0x3f1, v11
	v_cndmask_b32_e64 v7, 0, 1, vcc
	v_and_or_b32 v9, v10, s10, v9
	v_sub_u32_e32 v16, 0x3f1, v14
	v_med3_i32 v10, v15, 0, 13
	v_and_or_b32 v7, v13, s10, v7
	v_or_b32_e32 v15, 0x1000, v9
	v_add_u32_e32 v11, 0xfffffc10, v11
	v_med3_i32 v13, v16, 0, 13
	v_cmp_ne_u32_e32 vcc, 0, v9
	v_or_b32_e32 v17, 0x1000, v7
	v_lshrrev_b32_e32 v20, v10, v15
	v_add_u32_e32 v14, 0xfffffc10, v14
	v_lshl_or_b32 v16, v11, 12, v9
	v_cndmask_b32_e64 v9, 0, 1, vcc
	v_cmp_ne_u32_e32 vcc, 0, v7
	v_lshrrev_b32_e32 v21, v13, v17
	v_lshlrev_b32_e32 v10, v10, v20
	v_lshl_or_b32 v18, v14, 12, v7
	v_cndmask_b32_e64 v7, 0, 1, vcc
	v_lshlrev_b32_e32 v13, v13, v21
	v_cmp_ne_u32_e32 vcc, v10, v15
	v_cndmask_b32_e64 v10, 0, 1, vcc
	v_cmp_ne_u32_e32 vcc, v13, v17
	v_cndmask_b32_e64 v13, 0, 1, vcc
	v_or_b32_e32 v10, v20, v10
	v_cmp_gt_i32_e32 vcc, 1, v11
	v_cndmask_b32_e32 v10, v16, v10, vcc
	v_or_b32_e32 v13, v21, v13
	v_cmp_gt_i32_e32 vcc, 1, v14
	v_and_b32_e32 v15, 7, v10
	v_cndmask_b32_e32 v13, v18, v13, vcc
	v_cmp_lt_i32_e32 vcc, 5, v15
	v_cmp_eq_u32_e64 s[0:1], 3, v15
	v_lshrrev_b32_e32 v10, 2, v10
	v_and_b32_e32 v16, 7, v13
	s_or_b64 vcc, s[0:1], vcc
	v_cmp_lt_i32_e64 s[2:3], 5, v16
	v_cmp_eq_u32_e64 s[4:5], 3, v16
	v_addc_co_u32_e32 v10, vcc, 0, v10, vcc
	v_lshrrev_b32_e32 v13, 2, v13
	s_or_b64 vcc, s[4:5], s[2:3]
	v_addc_co_u32_e32 v13, vcc, 0, v13, vcc
	v_cmp_gt_i32_e32 vcc, 31, v11
	v_cndmask_b32_e32 v10, v0, v10, vcc
	v_cmp_gt_i32_e32 vcc, 31, v14
	v_lshl_or_b32 v9, v9, 9, v0
	v_cndmask_b32_e32 v13, v0, v13, vcc
	v_cmp_eq_u32_e32 vcc, s18, v11
	v_lshl_or_b32 v7, v7, 9, v0
	v_cndmask_b32_e32 v9, v10, v9, vcc
	v_cmp_eq_u32_e32 vcc, s18, v14
	v_lshrrev_b32_e32 v8, 16, v8
	v_cndmask_b32_e32 v7, v13, v7, vcc
	v_and_or_b32 v9, v12, s17, v9
	v_and_or_b32 v7, v8, s17, v7
	v_and_b32_e32 v8, 0xffff, v9
	v_lshl_or_b32 v7, v7, 16, v8
	global_store_dword v[3:4], v7, off
	global_load_dword v7, v26, s[6:7] offset:312
	ds_read2_b32 v[3:4], v19 offset0:78 offset1:84
	v_add_co_u32_e32 v5, vcc, s13, v5
	s_waitcnt lgkmcnt(0)
	v_lshrrev_b32_e32 v8, 16, v3
	s_waitcnt vmcnt(0)
	v_mul_f16_sdwa v9, v8, v7 dst_sel:DWORD dst_unused:UNUSED_PAD src0_sel:DWORD src1_sel:WORD_1
	v_fma_f16 v9, v3, v7, v9
	v_mul_f16_sdwa v3, v3, v7 dst_sel:DWORD dst_unused:UNUSED_PAD src0_sel:DWORD src1_sel:WORD_1
	v_cvt_f32_f16_e32 v9, v9
	v_fma_f16 v3, v7, v8, -v3
	v_cvt_f32_f16_e32 v3, v3
	v_cvt_f64_f32_e32 v[7:8], v9
	v_cvt_f64_f32_e32 v[9:10], v3
	v_mov_b32_e32 v3, s19
	v_mul_f64 v[7:8], v[7:8], s[14:15]
	v_addc_co_u32_e32 v6, vcc, v6, v3, vcc
	v_mul_f64 v[9:10], v[9:10], s[14:15]
	v_and_or_b32 v3, v8, s16, v7
	v_cmp_ne_u32_e32 vcc, 0, v3
	v_lshrrev_b32_e32 v7, 8, v8
	v_and_or_b32 v9, v10, s16, v9
	v_bfe_u32 v11, v8, 20, 11
	v_cndmask_b32_e64 v3, 0, 1, vcc
	v_cmp_ne_u32_e32 vcc, 0, v9
	v_lshrrev_b32_e32 v12, 8, v10
	v_bfe_u32 v13, v10, 20, 11
	v_sub_u32_e32 v14, 0x3f1, v11
	v_cndmask_b32_e64 v9, 0, 1, vcc
	v_and_or_b32 v3, v7, s10, v3
	v_sub_u32_e32 v15, 0x3f1, v13
	v_med3_i32 v7, v14, 0, 13
	v_and_or_b32 v9, v12, s10, v9
	v_or_b32_e32 v14, 0x1000, v3
	v_add_u32_e32 v11, 0xfffffc10, v11
	v_med3_i32 v12, v15, 0, 13
	v_cmp_ne_u32_e32 vcc, 0, v3
	v_or_b32_e32 v16, 0x1000, v9
	v_lshrrev_b32_e32 v18, v7, v14
	v_add_u32_e32 v13, 0xfffffc10, v13
	v_lshl_or_b32 v15, v11, 12, v3
	v_cndmask_b32_e64 v3, 0, 1, vcc
	v_cmp_ne_u32_e32 vcc, 0, v9
	v_lshrrev_b32_e32 v20, v12, v16
	v_lshlrev_b32_e32 v7, v7, v18
	v_lshl_or_b32 v17, v13, 12, v9
	v_cndmask_b32_e64 v9, 0, 1, vcc
	v_lshlrev_b32_e32 v12, v12, v20
	v_cmp_ne_u32_e32 vcc, v7, v14
	v_cndmask_b32_e64 v7, 0, 1, vcc
	v_cmp_ne_u32_e32 vcc, v12, v16
	v_cndmask_b32_e64 v12, 0, 1, vcc
	v_or_b32_e32 v7, v18, v7
	v_cmp_gt_i32_e32 vcc, 1, v11
	v_cndmask_b32_e32 v7, v15, v7, vcc
	v_or_b32_e32 v12, v20, v12
	v_cmp_gt_i32_e32 vcc, 1, v13
	v_and_b32_e32 v14, 7, v7
	v_cndmask_b32_e32 v12, v17, v12, vcc
	v_cmp_lt_i32_e32 vcc, 5, v14
	v_cmp_eq_u32_e64 s[0:1], 3, v14
	v_lshrrev_b32_e32 v7, 2, v7
	v_and_b32_e32 v15, 7, v12
	s_or_b64 vcc, s[0:1], vcc
	v_cmp_lt_i32_e64 s[2:3], 5, v15
	v_cmp_eq_u32_e64 s[4:5], 3, v15
	v_addc_co_u32_e32 v7, vcc, 0, v7, vcc
	v_lshrrev_b32_e32 v12, 2, v12
	s_or_b64 vcc, s[4:5], s[2:3]
	v_addc_co_u32_e32 v12, vcc, 0, v12, vcc
	v_cmp_gt_i32_e32 vcc, 31, v11
	v_cndmask_b32_e32 v7, v0, v7, vcc
	v_cmp_gt_i32_e32 vcc, 31, v13
	v_lshl_or_b32 v3, v3, 9, v0
	v_cndmask_b32_e32 v12, v0, v12, vcc
	v_cmp_eq_u32_e32 vcc, s18, v11
	v_lshrrev_b32_e32 v8, 16, v8
	v_lshl_or_b32 v9, v9, 9, v0
	v_cndmask_b32_e32 v3, v7, v3, vcc
	v_cmp_eq_u32_e32 vcc, s18, v13
	v_lshrrev_b32_e32 v10, 16, v10
	v_cndmask_b32_e32 v7, v12, v9, vcc
	v_and_or_b32 v3, v8, s17, v3
	v_and_or_b32 v7, v10, s17, v7
	v_and_b32_e32 v3, 0xffff, v3
	v_lshl_or_b32 v3, v7, 16, v3
	global_store_dword v[5:6], v3, off
	global_load_dword v3, v26, s[6:7] offset:336
	v_lshrrev_b32_e32 v7, 16, v4
	v_mov_b32_e32 v9, s12
	v_add_co_u32_e32 v5, vcc, s11, v5
	v_addc_co_u32_e32 v6, vcc, v6, v9, vcc
	s_waitcnt vmcnt(0)
	v_mul_f16_sdwa v8, v7, v3 dst_sel:DWORD dst_unused:UNUSED_PAD src0_sel:DWORD src1_sel:WORD_1
	v_fma_f16 v8, v4, v3, v8
	v_mul_f16_sdwa v4, v4, v3 dst_sel:DWORD dst_unused:UNUSED_PAD src0_sel:DWORD src1_sel:WORD_1
	v_cvt_f32_f16_e32 v8, v8
	v_fma_f16 v3, v3, v7, -v4
	v_cvt_f32_f16_e32 v7, v3
	v_cvt_f64_f32_e32 v[3:4], v8
	v_cvt_f64_f32_e32 v[7:8], v7
	v_mul_f64 v[3:4], v[3:4], s[14:15]
	v_mul_f64 v[7:8], v[7:8], s[14:15]
	v_and_or_b32 v3, v4, s16, v3
	v_cmp_ne_u32_e32 vcc, 0, v3
	v_and_or_b32 v7, v8, s16, v7
	v_lshrrev_b32_e32 v9, 8, v4
	v_bfe_u32 v10, v4, 20, 11
	v_cndmask_b32_e64 v3, 0, 1, vcc
	v_cmp_ne_u32_e32 vcc, 0, v7
	v_lshrrev_b32_e32 v11, 8, v8
	v_bfe_u32 v12, v8, 20, 11
	v_sub_u32_e32 v13, 0x3f1, v10
	v_cndmask_b32_e64 v7, 0, 1, vcc
	v_and_or_b32 v3, v9, s10, v3
	v_sub_u32_e32 v14, 0x3f1, v12
	v_med3_i32 v9, v13, 0, 13
	v_and_or_b32 v7, v11, s10, v7
	v_or_b32_e32 v13, 0x1000, v3
	v_add_u32_e32 v10, 0xfffffc10, v10
	v_med3_i32 v11, v14, 0, 13
	v_cmp_ne_u32_e32 vcc, 0, v3
	v_or_b32_e32 v15, 0x1000, v7
	v_lshrrev_b32_e32 v17, v9, v13
	v_add_u32_e32 v12, 0xfffffc10, v12
	v_lshl_or_b32 v14, v10, 12, v3
	v_cndmask_b32_e64 v3, 0, 1, vcc
	v_cmp_ne_u32_e32 vcc, 0, v7
	v_lshrrev_b32_e32 v18, v11, v15
	v_lshlrev_b32_e32 v9, v9, v17
	v_lshl_or_b32 v16, v12, 12, v7
	v_cndmask_b32_e64 v7, 0, 1, vcc
	v_lshlrev_b32_e32 v11, v11, v18
	v_cmp_ne_u32_e32 vcc, v9, v13
	v_cndmask_b32_e64 v9, 0, 1, vcc
	v_cmp_ne_u32_e32 vcc, v11, v15
	v_cndmask_b32_e64 v11, 0, 1, vcc
	v_or_b32_e32 v9, v17, v9
	v_cmp_gt_i32_e32 vcc, 1, v10
	v_cndmask_b32_e32 v9, v14, v9, vcc
	v_or_b32_e32 v11, v18, v11
	v_cmp_gt_i32_e32 vcc, 1, v12
	v_and_b32_e32 v13, 7, v9
	v_cndmask_b32_e32 v11, v16, v11, vcc
	v_cmp_lt_i32_e32 vcc, 5, v13
	v_cmp_eq_u32_e64 s[0:1], 3, v13
	v_lshrrev_b32_e32 v9, 2, v9
	v_and_b32_e32 v14, 7, v11
	s_or_b64 vcc, s[0:1], vcc
	v_cmp_lt_i32_e64 s[2:3], 5, v14
	v_cmp_eq_u32_e64 s[4:5], 3, v14
	v_addc_co_u32_e32 v9, vcc, 0, v9, vcc
	v_lshrrev_b32_e32 v11, 2, v11
	s_or_b64 vcc, s[4:5], s[2:3]
	v_addc_co_u32_e32 v11, vcc, 0, v11, vcc
	v_cmp_gt_i32_e32 vcc, 31, v10
	v_cndmask_b32_e32 v9, v0, v9, vcc
	v_cmp_gt_i32_e32 vcc, 31, v12
	v_lshl_or_b32 v3, v3, 9, v0
	v_cndmask_b32_e32 v11, v0, v11, vcc
	v_cmp_eq_u32_e32 vcc, s18, v10
	v_lshrrev_b32_e32 v4, 16, v4
	v_lshl_or_b32 v7, v7, 9, v0
	v_cndmask_b32_e32 v3, v9, v3, vcc
	v_cmp_eq_u32_e32 vcc, s18, v12
	v_lshrrev_b32_e32 v8, 16, v8
	v_cndmask_b32_e32 v7, v11, v7, vcc
	v_and_or_b32 v3, v4, s17, v3
	v_and_or_b32 v4, v8, s17, v7
	v_and_b32_e32 v3, 0xffff, v3
	v_lshl_or_b32 v3, v4, 16, v3
	global_store_dword v[5:6], v3, off
	global_load_dword v7, v26, s[6:7] offset:360
	ds_read2_b32 v[3:4], v19 offset0:90 offset1:96
	v_add_co_u32_e32 v5, vcc, s11, v5
	s_waitcnt lgkmcnt(0)
	v_lshrrev_b32_e32 v8, 16, v3
	s_waitcnt vmcnt(0)
	v_mul_f16_sdwa v9, v8, v7 dst_sel:DWORD dst_unused:UNUSED_PAD src0_sel:DWORD src1_sel:WORD_1
	v_fma_f16 v9, v3, v7, v9
	v_mul_f16_sdwa v3, v3, v7 dst_sel:DWORD dst_unused:UNUSED_PAD src0_sel:DWORD src1_sel:WORD_1
	v_cvt_f32_f16_e32 v9, v9
	v_fma_f16 v3, v7, v8, -v3
	v_cvt_f32_f16_e32 v3, v3
	v_cvt_f64_f32_e32 v[7:8], v9
	v_cvt_f64_f32_e32 v[9:10], v3
	v_mov_b32_e32 v3, s12
	v_mul_f64 v[7:8], v[7:8], s[14:15]
	v_addc_co_u32_e32 v6, vcc, v6, v3, vcc
	v_mul_f64 v[9:10], v[9:10], s[14:15]
	v_and_or_b32 v3, v8, s16, v7
	v_cmp_ne_u32_e32 vcc, 0, v3
	v_lshrrev_b32_e32 v7, 8, v8
	v_and_or_b32 v9, v10, s16, v9
	v_bfe_u32 v11, v8, 20, 11
	v_cndmask_b32_e64 v3, 0, 1, vcc
	v_cmp_ne_u32_e32 vcc, 0, v9
	v_lshrrev_b32_e32 v12, 8, v10
	v_bfe_u32 v13, v10, 20, 11
	v_sub_u32_e32 v14, 0x3f1, v11
	v_cndmask_b32_e64 v9, 0, 1, vcc
	v_and_or_b32 v3, v7, s10, v3
	v_sub_u32_e32 v15, 0x3f1, v13
	v_med3_i32 v7, v14, 0, 13
	v_and_or_b32 v9, v12, s10, v9
	v_or_b32_e32 v14, 0x1000, v3
	v_add_u32_e32 v11, 0xfffffc10, v11
	v_med3_i32 v12, v15, 0, 13
	v_cmp_ne_u32_e32 vcc, 0, v3
	v_or_b32_e32 v16, 0x1000, v9
	v_lshrrev_b32_e32 v18, v7, v14
	v_add_u32_e32 v13, 0xfffffc10, v13
	v_lshl_or_b32 v15, v11, 12, v3
	v_cndmask_b32_e64 v3, 0, 1, vcc
	v_cmp_ne_u32_e32 vcc, 0, v9
	v_lshrrev_b32_e32 v19, v12, v16
	v_lshlrev_b32_e32 v7, v7, v18
	v_lshl_or_b32 v17, v13, 12, v9
	v_cndmask_b32_e64 v9, 0, 1, vcc
	v_lshlrev_b32_e32 v12, v12, v19
	v_cmp_ne_u32_e32 vcc, v7, v14
	v_cndmask_b32_e64 v7, 0, 1, vcc
	v_cmp_ne_u32_e32 vcc, v12, v16
	v_cndmask_b32_e64 v12, 0, 1, vcc
	v_or_b32_e32 v7, v18, v7
	v_cmp_gt_i32_e32 vcc, 1, v11
	v_cndmask_b32_e32 v7, v15, v7, vcc
	v_or_b32_e32 v12, v19, v12
	v_cmp_gt_i32_e32 vcc, 1, v13
	v_and_b32_e32 v14, 7, v7
	v_cndmask_b32_e32 v12, v17, v12, vcc
	v_cmp_lt_i32_e32 vcc, 5, v14
	v_cmp_eq_u32_e64 s[0:1], 3, v14
	v_lshrrev_b32_e32 v7, 2, v7
	v_and_b32_e32 v15, 7, v12
	s_or_b64 vcc, s[0:1], vcc
	v_cmp_lt_i32_e64 s[2:3], 5, v15
	v_cmp_eq_u32_e64 s[4:5], 3, v15
	v_addc_co_u32_e32 v7, vcc, 0, v7, vcc
	v_lshrrev_b32_e32 v12, 2, v12
	s_or_b64 vcc, s[4:5], s[2:3]
	v_addc_co_u32_e32 v12, vcc, 0, v12, vcc
	v_cmp_gt_i32_e32 vcc, 31, v11
	v_cndmask_b32_e32 v7, v0, v7, vcc
	v_cmp_gt_i32_e32 vcc, 31, v13
	v_lshl_or_b32 v3, v3, 9, v0
	v_cndmask_b32_e32 v12, v0, v12, vcc
	v_cmp_eq_u32_e32 vcc, s18, v11
	v_lshrrev_b32_e32 v8, 16, v8
	v_lshl_or_b32 v9, v9, 9, v0
	v_cndmask_b32_e32 v3, v7, v3, vcc
	v_cmp_eq_u32_e32 vcc, s18, v13
	v_lshrrev_b32_e32 v10, 16, v10
	v_cndmask_b32_e32 v7, v12, v9, vcc
	v_and_or_b32 v3, v8, s17, v3
	v_and_or_b32 v7, v10, s17, v7
	v_and_b32_e32 v3, 0xffff, v3
	v_lshl_or_b32 v3, v7, 16, v3
	global_store_dword v[5:6], v3, off
	global_load_dword v3, v26, s[6:7] offset:384
	v_lshrrev_b32_e32 v7, 16, v4
	v_or_b32_e32 v9, 0x60, v25
	v_mad_u64_u32 v[5:6], s[0:1], s8, v9, 0
	s_waitcnt vmcnt(0)
	v_mul_f16_sdwa v8, v7, v3 dst_sel:DWORD dst_unused:UNUSED_PAD src0_sel:DWORD src1_sel:WORD_1
	v_fma_f16 v8, v4, v3, v8
	v_mul_f16_sdwa v4, v4, v3 dst_sel:DWORD dst_unused:UNUSED_PAD src0_sel:DWORD src1_sel:WORD_1
	v_cvt_f32_f16_e32 v8, v8
	v_fma_f16 v3, v3, v7, -v4
	v_cvt_f32_f16_e32 v7, v3
	v_cvt_f64_f32_e32 v[3:4], v8
	v_cvt_f64_f32_e32 v[7:8], v7
	v_mul_f64 v[3:4], v[3:4], s[14:15]
	v_mad_u64_u32 v[9:10], s[0:1], s9, v9, v[6:7]
	v_mul_f64 v[7:8], v[7:8], s[14:15]
	v_mov_b32_e32 v6, v9
	v_lshlrev_b64 v[5:6], 2, v[5:6]
	v_and_or_b32 v3, v4, s16, v3
	v_cmp_ne_u32_e32 vcc, 0, v3
	v_lshrrev_b32_e32 v9, 8, v4
	v_bfe_u32 v10, v4, 20, 11
	v_and_or_b32 v7, v8, s16, v7
	v_cndmask_b32_e64 v3, 0, 1, vcc
	v_cmp_ne_u32_e32 vcc, 0, v7
	v_lshrrev_b32_e32 v11, 8, v8
	v_bfe_u32 v12, v8, 20, 11
	v_sub_u32_e32 v13, 0x3f1, v10
	v_cndmask_b32_e64 v7, 0, 1, vcc
	v_and_or_b32 v3, v9, s10, v3
	v_sub_u32_e32 v14, 0x3f1, v12
	v_med3_i32 v9, v13, 0, 13
	v_and_or_b32 v7, v11, s10, v7
	v_or_b32_e32 v13, 0x1000, v3
	v_add_u32_e32 v10, 0xfffffc10, v10
	v_med3_i32 v11, v14, 0, 13
	v_cmp_ne_u32_e32 vcc, 0, v3
	v_or_b32_e32 v15, 0x1000, v7
	v_lshrrev_b32_e32 v17, v9, v13
	v_add_u32_e32 v12, 0xfffffc10, v12
	v_lshl_or_b32 v14, v10, 12, v3
	v_cndmask_b32_e64 v3, 0, 1, vcc
	v_cmp_ne_u32_e32 vcc, 0, v7
	v_lshrrev_b32_e32 v18, v11, v15
	v_lshlrev_b32_e32 v9, v9, v17
	v_lshl_or_b32 v16, v12, 12, v7
	v_cndmask_b32_e64 v7, 0, 1, vcc
	v_lshlrev_b32_e32 v11, v11, v18
	v_cmp_ne_u32_e32 vcc, v9, v13
	v_cndmask_b32_e64 v9, 0, 1, vcc
	v_cmp_ne_u32_e32 vcc, v11, v15
	v_cndmask_b32_e64 v11, 0, 1, vcc
	v_or_b32_e32 v9, v17, v9
	v_cmp_gt_i32_e32 vcc, 1, v10
	v_cndmask_b32_e32 v9, v14, v9, vcc
	v_or_b32_e32 v11, v18, v11
	v_cmp_gt_i32_e32 vcc, 1, v12
	v_and_b32_e32 v13, 7, v9
	v_cndmask_b32_e32 v11, v16, v11, vcc
	v_cmp_lt_i32_e32 vcc, 5, v13
	v_cmp_eq_u32_e64 s[0:1], 3, v13
	v_lshrrev_b32_e32 v9, 2, v9
	v_and_b32_e32 v14, 7, v11
	s_or_b64 vcc, s[0:1], vcc
	v_cmp_lt_i32_e64 s[2:3], 5, v14
	v_cmp_eq_u32_e64 s[4:5], 3, v14
	v_addc_co_u32_e32 v9, vcc, 0, v9, vcc
	v_lshrrev_b32_e32 v11, 2, v11
	s_or_b64 vcc, s[4:5], s[2:3]
	v_addc_co_u32_e32 v11, vcc, 0, v11, vcc
	v_cmp_gt_i32_e32 vcc, 31, v10
	v_cndmask_b32_e32 v9, v0, v9, vcc
	v_cmp_gt_i32_e32 vcc, 31, v12
	v_lshl_or_b32 v3, v3, 9, v0
	v_lshl_or_b32 v7, v7, 9, v0
	v_cndmask_b32_e32 v0, v0, v11, vcc
	v_cmp_eq_u32_e32 vcc, s18, v10
	v_lshrrev_b32_e32 v4, 16, v4
	v_cndmask_b32_e32 v3, v9, v3, vcc
	v_cmp_eq_u32_e32 vcc, s18, v12
	v_lshrrev_b32_e32 v8, 16, v8
	v_cndmask_b32_e32 v0, v0, v7, vcc
	v_and_or_b32 v3, v4, s17, v3
	v_and_or_b32 v0, v8, s17, v0
	v_and_b32_e32 v3, 0xffff, v3
	v_lshl_or_b32 v3, v0, 16, v3
	v_add_co_u32_e32 v0, vcc, v1, v5
	v_addc_co_u32_e32 v1, vcc, v2, v6, vcc
	global_store_dword v[0:1], v3, off
.LBB0_15:
	s_endpgm
	.section	.rodata,"a",@progbits
	.p2align	6, 0x0
	.amdhsa_kernel bluestein_single_back_len102_dim1_half_op_CI_CI
		.amdhsa_group_segment_fixed_size 2856
		.amdhsa_private_segment_fixed_size 0
		.amdhsa_kernarg_size 104
		.amdhsa_user_sgpr_count 6
		.amdhsa_user_sgpr_private_segment_buffer 1
		.amdhsa_user_sgpr_dispatch_ptr 0
		.amdhsa_user_sgpr_queue_ptr 0
		.amdhsa_user_sgpr_kernarg_segment_ptr 1
		.amdhsa_user_sgpr_dispatch_id 0
		.amdhsa_user_sgpr_flat_scratch_init 0
		.amdhsa_user_sgpr_private_segment_size 0
		.amdhsa_uses_dynamic_stack 0
		.amdhsa_system_sgpr_private_segment_wavefront_offset 0
		.amdhsa_system_sgpr_workgroup_id_x 1
		.amdhsa_system_sgpr_workgroup_id_y 0
		.amdhsa_system_sgpr_workgroup_id_z 0
		.amdhsa_system_sgpr_workgroup_info 0
		.amdhsa_system_vgpr_workitem_id 0
		.amdhsa_next_free_vgpr 207
		.amdhsa_next_free_sgpr 35
		.amdhsa_reserve_vcc 1
		.amdhsa_reserve_flat_scratch 0
		.amdhsa_float_round_mode_32 0
		.amdhsa_float_round_mode_16_64 0
		.amdhsa_float_denorm_mode_32 3
		.amdhsa_float_denorm_mode_16_64 3
		.amdhsa_dx10_clamp 1
		.amdhsa_ieee_mode 1
		.amdhsa_fp16_overflow 0
		.amdhsa_exception_fp_ieee_invalid_op 0
		.amdhsa_exception_fp_denorm_src 0
		.amdhsa_exception_fp_ieee_div_zero 0
		.amdhsa_exception_fp_ieee_overflow 0
		.amdhsa_exception_fp_ieee_underflow 0
		.amdhsa_exception_fp_ieee_inexact 0
		.amdhsa_exception_int_div_zero 0
	.end_amdhsa_kernel
	.text
.Lfunc_end0:
	.size	bluestein_single_back_len102_dim1_half_op_CI_CI, .Lfunc_end0-bluestein_single_back_len102_dim1_half_op_CI_CI
                                        ; -- End function
	.section	.AMDGPU.csdata,"",@progbits
; Kernel info:
; codeLenInByte = 23424
; NumSgprs: 39
; NumVgprs: 207
; ScratchSize: 0
; MemoryBound: 0
; FloatMode: 240
; IeeeMode: 1
; LDSByteSize: 2856 bytes/workgroup (compile time only)
; SGPRBlocks: 4
; VGPRBlocks: 51
; NumSGPRsForWavesPerEU: 39
; NumVGPRsForWavesPerEU: 207
; Occupancy: 1
; WaveLimiterHint : 1
; COMPUTE_PGM_RSRC2:SCRATCH_EN: 0
; COMPUTE_PGM_RSRC2:USER_SGPR: 6
; COMPUTE_PGM_RSRC2:TRAP_HANDLER: 0
; COMPUTE_PGM_RSRC2:TGID_X_EN: 1
; COMPUTE_PGM_RSRC2:TGID_Y_EN: 0
; COMPUTE_PGM_RSRC2:TGID_Z_EN: 0
; COMPUTE_PGM_RSRC2:TIDIG_COMP_CNT: 0
	.type	__hip_cuid_ca6b607f6c34519,@object ; @__hip_cuid_ca6b607f6c34519
	.section	.bss,"aw",@nobits
	.globl	__hip_cuid_ca6b607f6c34519
__hip_cuid_ca6b607f6c34519:
	.byte	0                               ; 0x0
	.size	__hip_cuid_ca6b607f6c34519, 1

	.ident	"AMD clang version 19.0.0git (https://github.com/RadeonOpenCompute/llvm-project roc-6.4.0 25133 c7fe45cf4b819c5991fe208aaa96edf142730f1d)"
	.section	".note.GNU-stack","",@progbits
	.addrsig
	.addrsig_sym __hip_cuid_ca6b607f6c34519
	.amdgpu_metadata
---
amdhsa.kernels:
  - .args:
      - .actual_access:  read_only
        .address_space:  global
        .offset:         0
        .size:           8
        .value_kind:     global_buffer
      - .actual_access:  read_only
        .address_space:  global
        .offset:         8
        .size:           8
        .value_kind:     global_buffer
      - .actual_access:  read_only
        .address_space:  global
        .offset:         16
        .size:           8
        .value_kind:     global_buffer
      - .actual_access:  read_only
        .address_space:  global
        .offset:         24
        .size:           8
        .value_kind:     global_buffer
      - .actual_access:  read_only
        .address_space:  global
        .offset:         32
        .size:           8
        .value_kind:     global_buffer
      - .offset:         40
        .size:           8
        .value_kind:     by_value
      - .address_space:  global
        .offset:         48
        .size:           8
        .value_kind:     global_buffer
      - .address_space:  global
        .offset:         56
        .size:           8
        .value_kind:     global_buffer
      - .address_space:  global
        .offset:         64
        .size:           8
        .value_kind:     global_buffer
      - .address_space:  global
        .offset:         72
        .size:           8
        .value_kind:     global_buffer
      - .offset:         80
        .size:           4
        .value_kind:     by_value
      - .address_space:  global
        .offset:         88
        .size:           8
        .value_kind:     global_buffer
      - .address_space:  global
        .offset:         96
        .size:           8
        .value_kind:     global_buffer
    .group_segment_fixed_size: 2856
    .kernarg_segment_align: 8
    .kernarg_segment_size: 104
    .language:       OpenCL C
    .language_version:
      - 2
      - 0
    .max_flat_workgroup_size: 119
    .name:           bluestein_single_back_len102_dim1_half_op_CI_CI
    .private_segment_fixed_size: 0
    .sgpr_count:     39
    .sgpr_spill_count: 0
    .symbol:         bluestein_single_back_len102_dim1_half_op_CI_CI.kd
    .uniform_work_group_size: 1
    .uses_dynamic_stack: false
    .vgpr_count:     207
    .vgpr_spill_count: 0
    .wavefront_size: 64
amdhsa.target:   amdgcn-amd-amdhsa--gfx906
amdhsa.version:
  - 1
  - 2
...

	.end_amdgpu_metadata
